;; amdgpu-corpus repo=ROCm/rocFFT kind=compiled arch=gfx950 opt=O3
	.text
	.amdgcn_target "amdgcn-amd-amdhsa--gfx950"
	.amdhsa_code_object_version 6
	.protected	fft_rtc_fwd_len1078_factors_2_11_7_7_wgs_231_tpt_77_halfLds_sp_op_CI_CI_sbrr_dirReg ; -- Begin function fft_rtc_fwd_len1078_factors_2_11_7_7_wgs_231_tpt_77_halfLds_sp_op_CI_CI_sbrr_dirReg
	.globl	fft_rtc_fwd_len1078_factors_2_11_7_7_wgs_231_tpt_77_halfLds_sp_op_CI_CI_sbrr_dirReg
	.p2align	8
	.type	fft_rtc_fwd_len1078_factors_2_11_7_7_wgs_231_tpt_77_halfLds_sp_op_CI_CI_sbrr_dirReg,@function
fft_rtc_fwd_len1078_factors_2_11_7_7_wgs_231_tpt_77_halfLds_sp_op_CI_CI_sbrr_dirReg: ; @fft_rtc_fwd_len1078_factors_2_11_7_7_wgs_231_tpt_77_halfLds_sp_op_CI_CI_sbrr_dirReg
; %bb.0:
	s_load_dwordx4 s[12:15], s[0:1], 0x18
	s_load_dwordx4 s[8:11], s[0:1], 0x0
	;; [unrolled: 1-line block ×3, first 2 shown]
	v_mul_u32_u24_e32 v1, 0x354, v0
	v_lshrrev_b32_e32 v2, 16, v1
	s_waitcnt lgkmcnt(0)
	s_load_dwordx2 s[18:19], s[12:13], 0x0
	s_load_dwordx2 s[16:17], s[14:15], 0x0
	v_mad_u64_u32 v[2:3], s[2:3], s2, 3, v[2:3]
	v_mov_b32_e32 v6, 0
	v_mov_b32_e32 v3, v6
	v_cmp_lt_u64_e64 s[2:3], s[10:11], 2
	v_mov_b64_e32 v[4:5], 0
	s_and_b64 vcc, exec, s[2:3]
	v_mov_b64_e32 v[12:13], v[4:5]
	v_mov_b64_e32 v[8:9], v[2:3]
	s_cbranch_vccnz .LBB0_8
; %bb.1:
	s_load_dwordx2 s[2:3], s[0:1], 0x10
	s_add_u32 s20, s14, 8
	s_addc_u32 s21, s15, 0
	s_add_u32 s22, s12, 8
	s_addc_u32 s23, s13, 0
	s_waitcnt lgkmcnt(0)
	s_add_u32 s24, s2, 8
	v_mov_b64_e32 v[4:5], 0
	s_addc_u32 s25, s3, 0
	s_mov_b64 s[26:27], 1
	v_mov_b64_e32 v[12:13], v[4:5]
	v_mov_b64_e32 v[10:11], v[2:3]
.LBB0_2:                                ; =>This Inner Loop Header: Depth=1
	s_load_dwordx2 s[28:29], s[24:25], 0x0
                                        ; implicit-def: $vgpr8_vgpr9
	s_waitcnt lgkmcnt(0)
	v_or_b32_e32 v7, s29, v11
	v_cmp_ne_u64_e32 vcc, 0, v[6:7]
	s_and_saveexec_b64 s[2:3], vcc
	s_xor_b64 s[30:31], exec, s[2:3]
	s_cbranch_execz .LBB0_4
; %bb.3:                                ;   in Loop: Header=BB0_2 Depth=1
	v_cvt_f32_u32_e32 v1, s28
	v_cvt_f32_u32_e32 v3, s29
	s_sub_u32 s2, 0, s28
	s_subb_u32 s3, 0, s29
	v_fmac_f32_e32 v1, 0x4f800000, v3
	v_rcp_f32_e32 v1, v1
	s_nop 0
	v_mul_f32_e32 v1, 0x5f7ffffc, v1
	v_mul_f32_e32 v3, 0x2f800000, v1
	v_trunc_f32_e32 v3, v3
	v_fmac_f32_e32 v1, 0xcf800000, v3
	v_cvt_u32_f32_e32 v3, v3
	v_cvt_u32_f32_e32 v1, v1
	v_mul_lo_u32 v7, s2, v3
	v_mul_hi_u32 v8, s2, v1
	v_mul_lo_u32 v9, s3, v1
	v_add_u32_e32 v7, v8, v7
	v_mul_lo_u32 v16, s2, v1
	v_add_u32_e32 v7, v7, v9
	v_mul_hi_u32 v8, v1, v16
	v_mul_hi_u32 v15, v1, v7
	v_mul_lo_u32 v14, v1, v7
	v_mov_b32_e32 v9, v6
	v_lshl_add_u64 v[8:9], v[8:9], 0, v[14:15]
	v_mul_hi_u32 v15, v3, v16
	v_mul_lo_u32 v16, v3, v16
	v_add_co_u32_e32 v8, vcc, v8, v16
	v_mul_hi_u32 v14, v3, v7
	s_nop 0
	v_addc_co_u32_e32 v8, vcc, v9, v15, vcc
	v_mov_b32_e32 v9, v6
	s_nop 0
	v_addc_co_u32_e32 v15, vcc, 0, v14, vcc
	v_mul_lo_u32 v14, v3, v7
	v_lshl_add_u64 v[8:9], v[8:9], 0, v[14:15]
	v_add_co_u32_e32 v1, vcc, v1, v8
	v_mul_hi_u32 v8, s2, v1
	s_nop 0
	v_addc_co_u32_e32 v3, vcc, v3, v9, vcc
	v_mul_lo_u32 v7, s2, v3
	v_add_u32_e32 v7, v8, v7
	v_mul_lo_u32 v8, s3, v1
	v_add_u32_e32 v7, v7, v8
	v_mul_lo_u32 v14, s2, v1
	v_mul_hi_u32 v17, v3, v14
	v_mul_lo_u32 v18, v3, v14
	v_mul_hi_u32 v9, v1, v7
	v_mul_lo_u32 v8, v1, v7
	v_mul_hi_u32 v14, v1, v14
	v_mov_b32_e32 v15, v6
	v_lshl_add_u64 v[8:9], v[14:15], 0, v[8:9]
	v_add_co_u32_e32 v8, vcc, v8, v18
	v_mul_hi_u32 v16, v3, v7
	s_nop 0
	v_addc_co_u32_e32 v8, vcc, v9, v17, vcc
	v_mul_lo_u32 v14, v3, v7
	s_nop 0
	v_addc_co_u32_e32 v15, vcc, 0, v16, vcc
	v_mov_b32_e32 v9, v6
	v_lshl_add_u64 v[8:9], v[8:9], 0, v[14:15]
	v_add_co_u32_e32 v1, vcc, v1, v8
	v_mul_hi_u32 v14, v10, v1
	s_nop 0
	v_addc_co_u32_e32 v3, vcc, v3, v9, vcc
	v_mad_u64_u32 v[8:9], s[2:3], v10, v3, 0
	v_mov_b32_e32 v15, v6
	v_lshl_add_u64 v[8:9], v[14:15], 0, v[8:9]
	v_mad_u64_u32 v[16:17], s[2:3], v11, v1, 0
	v_add_co_u32_e32 v1, vcc, v8, v16
	v_mad_u64_u32 v[14:15], s[2:3], v11, v3, 0
	s_nop 0
	v_addc_co_u32_e32 v8, vcc, v9, v17, vcc
	v_mov_b32_e32 v9, v6
	s_nop 0
	v_addc_co_u32_e32 v15, vcc, 0, v15, vcc
	v_lshl_add_u64 v[8:9], v[8:9], 0, v[14:15]
	v_mul_lo_u32 v1, s29, v8
	v_mul_lo_u32 v3, s28, v9
	v_mad_u64_u32 v[14:15], s[2:3], s28, v8, 0
	v_add3_u32 v1, v15, v3, v1
	v_sub_u32_e32 v3, v11, v1
	v_mov_b32_e32 v7, s29
	v_sub_co_u32_e32 v18, vcc, v10, v14
	v_lshl_add_u64 v[16:17], v[8:9], 0, 1
	s_nop 0
	v_subb_co_u32_e64 v3, s[2:3], v3, v7, vcc
	v_subrev_co_u32_e64 v7, s[2:3], s28, v18
	v_subb_co_u32_e32 v1, vcc, v11, v1, vcc
	s_nop 0
	v_subbrev_co_u32_e64 v3, s[2:3], 0, v3, s[2:3]
	v_cmp_le_u32_e64 s[2:3], s29, v3
	v_cmp_le_u32_e32 vcc, s29, v1
	s_nop 0
	v_cndmask_b32_e64 v14, 0, -1, s[2:3]
	v_cmp_le_u32_e64 s[2:3], s28, v7
	s_nop 1
	v_cndmask_b32_e64 v7, 0, -1, s[2:3]
	v_cmp_eq_u32_e64 s[2:3], s29, v3
	s_nop 1
	v_cndmask_b32_e64 v3, v14, v7, s[2:3]
	v_lshl_add_u64 v[14:15], v[8:9], 0, 2
	v_cmp_ne_u32_e64 s[2:3], 0, v3
	v_cndmask_b32_e64 v7, 0, -1, vcc
	v_cmp_le_u32_e32 vcc, s28, v18
	v_cndmask_b32_e64 v3, v17, v15, s[2:3]
	s_nop 0
	v_cndmask_b32_e64 v15, 0, -1, vcc
	v_cmp_eq_u32_e32 vcc, s29, v1
	s_nop 1
	v_cndmask_b32_e32 v1, v7, v15, vcc
	v_cmp_ne_u32_e32 vcc, 0, v1
	v_cndmask_b32_e64 v1, v16, v14, s[2:3]
	s_nop 0
	v_cndmask_b32_e32 v9, v9, v3, vcc
	v_cndmask_b32_e32 v8, v8, v1, vcc
.LBB0_4:                                ;   in Loop: Header=BB0_2 Depth=1
	s_andn2_saveexec_b64 s[2:3], s[30:31]
	s_cbranch_execz .LBB0_6
; %bb.5:                                ;   in Loop: Header=BB0_2 Depth=1
	v_cvt_f32_u32_e32 v1, s28
	s_sub_i32 s30, 0, s28
	v_mov_b32_e32 v9, v6
	v_rcp_iflag_f32_e32 v1, v1
	s_nop 0
	v_mul_f32_e32 v1, 0x4f7ffffe, v1
	v_cvt_u32_f32_e32 v1, v1
	v_mul_lo_u32 v3, s30, v1
	v_mul_hi_u32 v3, v1, v3
	v_add_u32_e32 v1, v1, v3
	v_mul_hi_u32 v1, v10, v1
	v_mul_lo_u32 v3, v1, s28
	v_sub_u32_e32 v3, v10, v3
	v_add_u32_e32 v7, 1, v1
	v_subrev_u32_e32 v8, s28, v3
	v_cmp_le_u32_e32 vcc, s28, v3
	s_nop 1
	v_cndmask_b32_e32 v3, v3, v8, vcc
	v_cndmask_b32_e32 v1, v1, v7, vcc
	v_add_u32_e32 v7, 1, v1
	v_cmp_le_u32_e32 vcc, s28, v3
	s_nop 1
	v_cndmask_b32_e32 v8, v1, v7, vcc
.LBB0_6:                                ;   in Loop: Header=BB0_2 Depth=1
	s_or_b64 exec, exec, s[2:3]
	v_mad_u64_u32 v[14:15], s[2:3], v8, s28, 0
	s_load_dwordx2 s[2:3], s[22:23], 0x0
	s_add_u32 s26, s26, 1
	v_mul_lo_u32 v1, v9, s28
	v_mul_lo_u32 v3, v8, s29
	s_load_dwordx2 s[28:29], s[20:21], 0x0
	s_addc_u32 s27, s27, 0
	v_add3_u32 v1, v15, v3, v1
	v_sub_co_u32_e32 v3, vcc, v10, v14
	s_add_u32 s20, s20, 8
	s_nop 0
	v_subb_co_u32_e32 v1, vcc, v11, v1, vcc
	s_addc_u32 s21, s21, 0
	s_waitcnt lgkmcnt(0)
	v_mul_lo_u32 v7, s2, v1
	v_mul_lo_u32 v10, s3, v3
	v_mad_u64_u32 v[4:5], s[2:3], s2, v3, v[4:5]
	s_add_u32 s22, s22, 8
	v_add3_u32 v5, v10, v5, v7
	s_addc_u32 s23, s23, 0
	v_mov_b64_e32 v[10:11], s[10:11]
	v_mul_lo_u32 v1, s28, v1
	v_mul_lo_u32 v7, s29, v3
	v_mad_u64_u32 v[12:13], s[2:3], s28, v3, v[12:13]
	s_add_u32 s24, s24, 8
	v_cmp_ge_u64_e32 vcc, s[26:27], v[10:11]
	v_add3_u32 v13, v7, v13, v1
	s_addc_u32 s25, s25, 0
	s_cbranch_vccnz .LBB0_8
; %bb.7:                                ;   in Loop: Header=BB0_2 Depth=1
	v_mov_b64_e32 v[10:11], v[8:9]
	s_branch .LBB0_2
.LBB0_8:
	s_load_dwordx2 s[0:1], s[0:1], 0x28
	s_lshl_b64 s[10:11], s[10:11], 3
	s_add_u32 s2, s14, s10
	s_addc_u32 s3, s15, s11
                                        ; implicit-def: $sgpr14_sgpr15
                                        ; implicit-def: $vgpr56
                                        ; implicit-def: $vgpr57
                                        ; implicit-def: $vgpr58
                                        ; implicit-def: $vgpr59
                                        ; implicit-def: $vgpr60
	s_waitcnt lgkmcnt(0)
	v_cmp_gt_u64_e32 vcc, s[0:1], v[8:9]
	v_cmp_le_u64_e64 s[0:1], s[0:1], v[8:9]
	s_and_saveexec_b64 s[20:21], s[0:1]
	s_xor_b64 s[0:1], exec, s[20:21]
; %bb.9:
	s_mov_b32 s14, 0x3531ded
	v_mul_hi_u32 v1, v0, s14
	v_mul_u32_u24_e32 v1, 0x4d, v1
	v_sub_u32_e32 v56, v0, v1
	v_add_u32_e32 v57, 0x4d, v56
	v_add_u32_e32 v58, 0x9a, v56
	;; [unrolled: 1-line block ×4, first 2 shown]
	s_mov_b64 s[14:15], 0
                                        ; implicit-def: $vgpr0
                                        ; implicit-def: $vgpr4_vgpr5
; %bb.10:
	s_or_saveexec_b64 s[0:1], s[0:1]
	v_mov_b64_e32 v[28:29], s[14:15]
	v_mov_b64_e32 v[30:31], s[14:15]
	;; [unrolled: 1-line block ×7, first 2 shown]
                                        ; implicit-def: $vgpr32
                                        ; implicit-def: $vgpr34
                                        ; implicit-def: $vgpr40
                                        ; implicit-def: $vgpr42
                                        ; implicit-def: $vgpr48
                                        ; implicit-def: $vgpr50
                                        ; implicit-def: $vgpr54
	s_xor_b64 exec, exec, s[0:1]
	s_cbranch_execz .LBB0_12
; %bb.11:
	s_add_u32 s10, s12, s10
	s_addc_u32 s11, s13, s11
	s_load_dwordx2 s[10:11], s[10:11], 0x0
	s_mov_b32 s12, 0x3531ded
	s_waitcnt lgkmcnt(0)
	v_mul_lo_u32 v1, s11, v8
	v_mul_lo_u32 v3, s10, v9
	v_mad_u64_u32 v[6:7], s[10:11], s10, v8, 0
	v_add3_u32 v7, v7, v3, v1
	v_mul_hi_u32 v1, v0, s12
	v_mul_u32_u24_e32 v1, 0x4d, v1
	v_sub_u32_e32 v56, v0, v1
	v_mad_u64_u32 v[0:1], s[10:11], s18, v56, 0
	v_mov_b32_e32 v10, v1
	v_lshl_add_u64 v[6:7], v[6:7], 3, s[4:5]
	v_add_u32_e32 v3, 0x21b, v56
	v_mad_u64_u32 v[10:11], s[10:11], s19, v56, v[10:11]
	v_lshl_add_u64 v[4:5], v[4:5], 3, v[6:7]
	v_mad_u64_u32 v[6:7], s[4:5], s18, v3, 0
	v_mov_b32_e32 v1, v10
	v_mov_b32_e32 v10, v7
	v_mad_u64_u32 v[10:11], s[4:5], s19, v3, v[10:11]
	v_add_u32_e32 v57, 0x4d, v56
	v_mov_b32_e32 v7, v10
	v_mad_u64_u32 v[10:11], s[4:5], s18, v57, 0
	v_mov_b32_e32 v14, v11
	v_mad_u64_u32 v[14:15], s[4:5], s19, v57, v[14:15]
	v_add_u32_e32 v3, 0x268, v56
	v_mov_b32_e32 v11, v14
	v_mad_u64_u32 v[14:15], s[4:5], s18, v3, 0
	v_mov_b32_e32 v16, v15
	v_mad_u64_u32 v[16:17], s[4:5], s19, v3, v[16:17]
	v_lshl_add_u64 v[0:1], v[0:1], 3, v[4:5]
	v_mov_b32_e32 v15, v16
	v_add_u32_e32 v58, 0x9a, v56
	v_lshl_add_u64 v[6:7], v[6:7], 3, v[4:5]
	v_lshl_add_u64 v[10:11], v[10:11], 3, v[4:5]
	v_lshl_add_u64 v[14:15], v[14:15], 3, v[4:5]
	global_load_dwordx2 v[28:29], v[0:1], off
	global_load_dwordx2 v[32:33], v[6:7], off
	global_load_dwordx2 v[30:31], v[10:11], off
	global_load_dwordx2 v[34:35], v[14:15], off
	v_mad_u64_u32 v[0:1], s[4:5], s18, v58, 0
	v_mov_b32_e32 v6, v1
	v_mad_u64_u32 v[6:7], s[4:5], s19, v58, v[6:7]
	v_add_u32_e32 v3, 0x2b5, v56
	v_mov_b32_e32 v1, v6
	v_mad_u64_u32 v[6:7], s[4:5], s18, v3, 0
	v_mov_b32_e32 v10, v7
	v_mad_u64_u32 v[10:11], s[4:5], s19, v3, v[10:11]
	v_add_u32_e32 v3, 0xe7, v56
	v_mov_b32_e32 v7, v10
	v_mad_u64_u32 v[10:11], s[4:5], s18, v3, 0
	v_mov_b32_e32 v14, v11
	v_mad_u64_u32 v[14:15], s[4:5], s19, v3, v[14:15]
	v_add_u32_e32 v3, 0x302, v56
	v_mov_b32_e32 v11, v14
	v_mad_u64_u32 v[14:15], s[4:5], s18, v3, 0
	v_mov_b32_e32 v16, v15
	v_mad_u64_u32 v[16:17], s[4:5], s19, v3, v[16:17]
	v_lshl_add_u64 v[0:1], v[0:1], 3, v[4:5]
	v_mov_b32_e32 v15, v16
	v_add_u32_e32 v59, 0x134, v56
	v_lshl_add_u64 v[6:7], v[6:7], 3, v[4:5]
	v_lshl_add_u64 v[10:11], v[10:11], 3, v[4:5]
	v_lshl_add_u64 v[14:15], v[14:15], 3, v[4:5]
	global_load_dwordx2 v[36:37], v[0:1], off
	global_load_dwordx2 v[40:41], v[6:7], off
	global_load_dwordx2 v[38:39], v[10:11], off
	global_load_dwordx2 v[42:43], v[14:15], off
	v_mad_u64_u32 v[0:1], s[4:5], s18, v59, 0
	v_mov_b32_e32 v6, v1
	v_mad_u64_u32 v[6:7], s[4:5], s19, v59, v[6:7]
	v_add_u32_e32 v3, 0x34f, v56
	v_mov_b32_e32 v1, v6
	v_mad_u64_u32 v[6:7], s[4:5], s18, v3, 0
	;; [unrolled: 28-line block ×3, first 2 shown]
	v_mov_b32_e32 v10, v7
	v_mad_u64_u32 v[10:11], s[4:5], s19, v3, v[10:11]
	v_lshl_add_u64 v[0:1], v[0:1], 3, v[4:5]
	v_mov_b32_e32 v7, v10
	v_lshl_add_u64 v[4:5], v[6:7], 3, v[4:5]
	global_load_dwordx2 v[52:53], v[0:1], off
	global_load_dwordx2 v[54:55], v[4:5], off
.LBB0_12:
	s_or_b64 exec, exec, s[0:1]
	s_mov_b32 s0, 0xaaaaaaab
	v_mul_hi_u32 v0, v2, s0
	v_lshrrev_b32_e32 v0, 1, v0
	v_lshl_add_u32 v0, v0, 1, v0
	v_sub_u32_e32 v0, v2, v0
	v_mul_u32_u24_e32 v18, 0x436, v0
	s_waitcnt vmcnt(0)
	v_sub_f32_e32 v5, v52, v54
	v_fma_f32 v4, v52, 2.0, -v5
	v_lshlrev_b32_e32 v52, 2, v18
	v_sub_f32_e32 v1, v28, v32
	v_sub_f32_e32 v7, v30, v34
	v_add_u32_e32 v18, 0, v52
	v_fma_f32 v0, v28, 2.0, -v1
	v_fma_f32 v6, v30, 2.0, -v7
	v_lshl_add_u32 v30, v56, 3, v18
	v_sub_f32_e32 v11, v36, v40
	v_sub_f32_e32 v17, v44, v48
	;; [unrolled: 1-line block ×3, first 2 shown]
	ds_write_b64 v30, v[0:1]
	v_lshlrev_b32_e32 v0, 2, v56
	v_fma_f32 v10, v36, 2.0, -v11
	v_sub_f32_e32 v15, v38, v42
	v_fma_f32 v16, v44, 2.0, -v17
	v_fma_f32 v2, v46, 2.0, -v3
	v_lshl_add_u32 v32, v57, 3, v18
	v_lshl_add_u32 v34, v58, 3, v18
	;; [unrolled: 1-line block ×3, first 2 shown]
	v_add3_u32 v50, 0, v0, v52
	s_load_dwordx2 s[2:3], s[2:3], 0x0
	v_fma_f32 v14, v38, 2.0, -v15
	ds_write_b64 v32, v[6:7]
	ds_write_b64 v34, v[10:11]
	ds_write_b64 v30, v[14:15] offset:1848
	ds_write_b64 v36, v[16:17]
	ds_write_b64 v30, v[2:3] offset:3080
	v_lshl_add_u32 v2, v60, 3, v18
	v_add_u32_e32 v48, v18, v0
	v_add_u32_e32 v38, 0x400, v50
	;; [unrolled: 1-line block ×5, first 2 shown]
	ds_write_b64 v2, v[4:5]
	s_waitcnt lgkmcnt(0)
	s_barrier
	ds_read_b32 v62, v48
	ds_read2_b32 v[26:27], v50 offset0:98 offset1:196
	ds_read2_b32 v[24:25], v38 offset0:38 offset1:136
	;; [unrolled: 1-line block ×5, first 2 shown]
	v_cmp_gt_u32_e64 s[0:1], 21, v56
	v_lshlrev_b32_e32 v54, 2, v57
                                        ; implicit-def: $vgpr14
                                        ; implicit-def: $vgpr16
                                        ; implicit-def: $vgpr11
                                        ; implicit-def: $vgpr19
	s_and_saveexec_b64 s[4:5], s[0:1]
	s_cbranch_execz .LBB0_14
; %bb.13:
	v_add3_u32 v0, 0, v54, v52
	ds_read_b32 v3, v0
	v_add_u32_e32 v0, 0x200, v50
	ds_read2_b32 v[4:5], v0 offset0:47 offset1:145
	ds_read2_b32 v[14:15], v38 offset0:115 offset1:213
	v_add_u32_e32 v0, 0x800, v50
	ds_read2_b32 v[16:17], v0 offset0:55 offset1:153
	ds_read2_b32 v[18:19], v61 offset0:123 offset1:221
	v_add_u32_e32 v0, 0xe00, v50
	ds_read2_b32 v[10:11], v0 offset0:63 offset1:161
.LBB0_14:
	s_or_b64 exec, exec, s[4:5]
	v_sub_f32_e32 v65, v29, v33
	v_sub_f32_e32 v43, v39, v43
	v_fma_f32 v64, v29, 2.0, -v65
	v_sub_f32_e32 v67, v31, v35
	v_sub_f32_e32 v69, v37, v41
	v_fma_f32 v42, v39, 2.0, -v43
	v_sub_f32_e32 v71, v45, v49
	v_sub_f32_e32 v1, v47, v51
	;; [unrolled: 1-line block ×3, first 2 shown]
	v_fma_f32 v66, v31, 2.0, -v67
	v_fma_f32 v68, v37, 2.0, -v69
	;; [unrolled: 1-line block ×5, first 2 shown]
	s_waitcnt lgkmcnt(0)
	s_barrier
	ds_write_b64 v30, v[64:65]
	ds_write_b64 v32, v[66:67]
	;; [unrolled: 1-line block ×3, first 2 shown]
	ds_write_b64 v30, v[42:43] offset:1848
	ds_write_b64 v36, v[70:71]
	ds_write_b64 v30, v[0:1] offset:3080
	ds_write_b64 v2, v[28:29]
	s_waitcnt lgkmcnt(0)
	s_barrier
	ds_read_b32 v2, v48
	ds_read2_b32 v[46:47], v50 offset0:98 offset1:196
	ds_read2_b32 v[44:45], v38 offset0:38 offset1:136
	;; [unrolled: 1-line block ×5, first 2 shown]
                                        ; implicit-def: $vgpr34
                                        ; implicit-def: $vgpr36
                                        ; implicit-def: $vgpr33
                                        ; implicit-def: $vgpr41
	s_and_saveexec_b64 s[4:5], s[0:1]
	s_cbranch_execz .LBB0_16
; %bb.15:
	v_add3_u32 v0, 0, v54, v52
	ds_read_b32 v1, v0
	v_add_u32_e32 v0, 0x200, v50
	ds_read2_b32 v[28:29], v0 offset0:47 offset1:145
	v_add_u32_e32 v0, 0x400, v50
	ds_read2_b32 v[34:35], v0 offset0:115 offset1:213
	;; [unrolled: 2-line block ×5, first 2 shown]
.LBB0_16:
	s_or_b64 exec, exec, s[4:5]
	v_and_b32_e32 v108, 1, v56
	v_mul_u32_u24_e32 v0, 10, v108
	v_lshlrev_b32_e32 v0, 3, v0
	global_load_dwordx4 v[68:71], v0, s[8:9]
	global_load_dwordx4 v[72:75], v0, s[8:9] offset:16
	global_load_dwordx4 v[76:79], v0, s[8:9] offset:32
	;; [unrolled: 1-line block ×4, first 2 shown]
	v_and_b32_e32 v0, 1, v57
	v_mul_u32_u24_e32 v49, 10, v0
	v_lshlrev_b32_e32 v49, 3, v49
	global_load_dwordx4 v[88:91], v49, s[8:9]
	global_load_dwordx4 v[92:95], v49, s[8:9] offset:16
	global_load_dwordx4 v[96:99], v49, s[8:9] offset:32
	;; [unrolled: 1-line block ×4, first 2 shown]
	s_mov_b32 s12, 0x3f575c64
	s_mov_b32 s10, 0x3ed4b147
	;; [unrolled: 1-line block ×5, first 2 shown]
	s_waitcnt lgkmcnt(0)
	s_barrier
	s_waitcnt vmcnt(9)
	v_mul_f32_e32 v49, v46, v69
	v_mul_f32_e32 v66, v26, v69
	;; [unrolled: 1-line block ×4, first 2 shown]
	s_waitcnt vmcnt(8)
	v_mul_f32_e32 v55, v44, v73
	v_fma_f32 v67, v26, v68, -v49
	v_mul_f32_e32 v64, v45, v75
	v_mul_f32_e32 v49, v25, v75
	;; [unrolled: 1-line block ×3, first 2 shown]
	v_fma_f32 v63, v27, v70, -v53
	v_fmac_f32_e32 v66, v46, v68
	v_fmac_f32_e32 v61, v47, v70
	s_waitcnt vmcnt(7)
	v_mul_f32_e32 v69, v42, v77
	v_mul_f32_e32 v26, v22, v77
	v_mul_f32_e32 v70, v43, v79
	v_mul_f32_e32 v27, v23, v79
	s_waitcnt vmcnt(6)
	v_mul_f32_e32 v71, v38, v81
	v_mul_f32_e32 v46, v20, v81
	v_fma_f32 v53, v24, v72, -v55
	v_fma_f32 v47, v25, v74, -v64
	v_mul_f32_e32 v55, v21, v83
	v_fmac_f32_e32 v49, v45, v74
	s_waitcnt vmcnt(5)
	v_mul_f32_e32 v68, v7, v87
	s_waitcnt vmcnt(4)
	v_mul_f32_e32 v74, v28, v89
	v_mul_f32_e32 v64, v39, v83
	v_fmac_f32_e32 v51, v44, v72
	v_mul_f32_e32 v73, v31, v87
	v_mul_f32_e32 v45, v4, v89
	v_fma_f32 v24, v22, v76, -v69
	v_fma_f32 v25, v23, v78, -v70
	v_mul_f32_e32 v44, v5, v91
	v_fmac_f32_e32 v26, v42, v76
	v_fmac_f32_e32 v27, v43, v78
	s_waitcnt vmcnt(3)
	v_mul_f32_e32 v70, v34, v93
	v_mul_f32_e32 v75, v35, v95
	s_waitcnt vmcnt(2)
	v_mul_f32_e32 v76, v36, v97
	v_fma_f32 v43, v20, v80, -v71
	v_mul_f32_e32 v71, v37, v99
	v_mul_f32_e32 v20, v17, v99
	v_fmac_f32_e32 v46, v38, v80
	v_fmac_f32_e32 v55, v39, v82
	s_waitcnt vmcnt(1)
	v_mul_f32_e32 v39, v40, v101
	v_mul_f32_e32 v77, v41, v103
	v_fmac_f32_e32 v68, v31, v86
	v_fma_f32 v38, v4, v88, -v74
	s_waitcnt vmcnt(0)
	v_mul_f32_e32 v4, v32, v105
	v_mul_f32_e32 v65, v6, v85
	;; [unrolled: 1-line block ×6, first 2 shown]
	v_fma_f32 v64, v21, v82, -v64
	v_mul_f32_e32 v21, v18, v101
	v_fma_f32 v7, v7, v86, -v73
	v_fmac_f32_e32 v45, v28, v88
	v_fmac_f32_e32 v44, v29, v90
	v_fma_f32 v29, v14, v92, -v70
	v_fma_f32 v28, v15, v94, -v75
	v_fma_f32 v14, v16, v96, -v76
	v_fma_f32 v15, v17, v98, -v71
	v_fmac_f32_e32 v20, v37, v98
	v_fma_f32 v16, v18, v100, -v39
	v_fma_f32 v17, v19, v102, -v77
	v_mul_f32_e32 v18, v19, v103
	v_fma_f32 v19, v10, v104, -v4
	v_mul_f32_e32 v31, v10, v105
	v_mul_f32_e32 v4, v33, v107
	;; [unrolled: 1-line block ×3, first 2 shown]
	v_sub_f32_e32 v10, v66, v68
	v_mul_f32_e32 v72, v30, v85
	v_fmac_f32_e32 v65, v30, v84
	v_fma_f32 v30, v5, v90, -v69
	v_fmac_f32_e32 v23, v35, v94
	v_fmac_f32_e32 v22, v36, v96
	;; [unrolled: 1-line block ×3, first 2 shown]
	v_fma_f32 v35, v11, v106, -v4
	v_fmac_f32_e32 v37, v33, v106
	v_add_f32_e32 v5, v67, v7
	v_mul_f32_e32 v11, 0xbf0a6770, v10
	v_mul_f32_e32 v33, 0xbf68dda4, v10
	;; [unrolled: 1-line block ×5, first 2 shown]
	v_fmac_f32_e32 v42, v34, v92
	v_fmac_f32_e32 v18, v41, v102
	;; [unrolled: 1-line block ×3, first 2 shown]
	v_fma_f32 v32, v5, s12, -v11
	v_fmac_f32_e32 v11, 0x3f575c64, v5
	v_fma_f32 v34, v5, s10, -v33
	v_fmac_f32_e32 v33, 0x3ed4b147, v5
	;; [unrolled: 2-line block ×5, first 2 shown]
	v_fma_f32 v6, v6, v84, -v72
	v_add_f32_e32 v4, v62, v67
	v_add_f32_e32 v32, v62, v32
	v_add_f32_e32 v11, v62, v11
	v_add_f32_e32 v34, v62, v34
	v_add_f32_e32 v33, v62, v33
	v_add_f32_e32 v39, v62, v39
	v_add_f32_e32 v36, v62, v36
	v_add_f32_e32 v41, v62, v41
	v_add_f32_e32 v40, v62, v40
	v_add_f32_e32 v69, v62, v69
	v_add_f32_e32 v5, v62, v10
	v_sub_f32_e32 v62, v61, v65
	v_add_f32_e32 v10, v63, v6
	v_mul_f32_e32 v70, 0xbf68dda4, v62
	v_fma_f32 v71, v10, s10, -v70
	v_fmac_f32_e32 v70, 0x3ed4b147, v10
	v_add_f32_e32 v11, v70, v11
	v_mul_f32_e32 v70, 0xbf4178ce, v62
	v_add_f32_e32 v32, v71, v32
	v_fma_f32 v71, v10, s13, -v70
	v_fmac_f32_e32 v70, 0xbf27a4f4, v10
	v_add_f32_e32 v33, v70, v33
	v_mul_f32_e32 v70, 0x3e903f40, v62
	v_add_f32_e32 v34, v71, v34
	v_fma_f32 v71, v10, s14, -v70
	v_fmac_f32_e32 v70, 0xbf75a155, v10
	v_add_f32_e32 v36, v70, v36
	v_mul_f32_e32 v70, 0x3f7d64f0, v62
	v_add_f32_e32 v39, v71, v39
	v_fma_f32 v71, v10, s11, -v70
	v_fmac_f32_e32 v70, 0xbe11bafb, v10
	v_mul_f32_e32 v62, 0x3f0a6770, v62
	v_add_f32_e32 v40, v70, v40
	v_fma_f32 v70, v10, s12, -v62
	v_fmac_f32_e32 v62, 0x3f575c64, v10
	v_add_f32_e32 v5, v62, v5
	v_sub_f32_e32 v62, v51, v55
	v_add_f32_e32 v69, v70, v69
	v_add_f32_e32 v10, v53, v64
	v_mul_f32_e32 v70, 0xbf7d64f0, v62
	v_add_f32_e32 v41, v71, v41
	v_fma_f32 v71, v10, s11, -v70
	v_fmac_f32_e32 v70, 0xbe11bafb, v10
	v_add_f32_e32 v11, v70, v11
	v_mul_f32_e32 v70, 0x3e903f40, v62
	v_add_f32_e32 v32, v71, v32
	v_fma_f32 v71, v10, s14, -v70
	v_fmac_f32_e32 v70, 0xbf75a155, v10
	v_add_f32_e32 v33, v70, v33
	v_mul_f32_e32 v70, 0x3f68dda4, v62
	v_add_f32_e32 v34, v71, v34
	v_fma_f32 v71, v10, s10, -v70
	v_fmac_f32_e32 v70, 0x3ed4b147, v10
	v_add_f32_e32 v36, v70, v36
	v_mul_f32_e32 v70, 0xbf0a6770, v62
	v_add_f32_e32 v39, v71, v39
	v_fma_f32 v71, v10, s12, -v70
	v_fmac_f32_e32 v70, 0x3f575c64, v10
	v_mul_f32_e32 v62, 0xbf4178ce, v62
	v_add_f32_e32 v40, v70, v40
	v_fma_f32 v70, v10, s13, -v62
	v_fmac_f32_e32 v62, 0xbf27a4f4, v10
	v_add_f32_e32 v5, v62, v5
	v_sub_f32_e32 v62, v49, v46
	v_add_f32_e32 v69, v70, v69
	v_add_f32_e32 v10, v47, v43
	v_mul_f32_e32 v70, 0xbf4178ce, v62
	v_add_f32_e32 v41, v71, v41
	;; [unrolled: 27-line block ×3, first 2 shown]
	v_fma_f32 v71, v10, s14, -v70
	v_fmac_f32_e32 v70, 0xbf75a155, v10
	v_add_f32_e32 v11, v70, v11
	v_mul_f32_e32 v70, 0x3f0a6770, v62
	v_add_f32_e32 v32, v71, v32
	v_fma_f32 v71, v10, s12, -v70
	v_fmac_f32_e32 v70, 0x3f575c64, v10
	v_add_f32_e32 v4, v4, v63
	v_add_f32_e32 v33, v70, v33
	v_mul_f32_e32 v70, 0xbf4178ce, v62
	v_add_f32_e32 v4, v4, v53
	v_add_f32_e32 v34, v71, v34
	v_fma_f32 v71, v10, s13, -v70
	v_fmac_f32_e32 v70, 0xbf27a4f4, v10
	v_add_f32_e32 v4, v4, v47
	v_add_f32_e32 v36, v70, v36
	v_mul_f32_e32 v70, 0x3f68dda4, v62
	v_add_f32_e32 v4, v4, v24
	v_add_f32_e32 v39, v71, v39
	v_fma_f32 v71, v10, s10, -v70
	v_fmac_f32_e32 v70, 0x3ed4b147, v10
	v_mul_f32_e32 v62, 0xbf7d64f0, v62
	v_add_f32_e32 v4, v4, v25
	v_add_f32_e32 v40, v70, v40
	v_fma_f32 v70, v10, s11, -v62
	v_fmac_f32_e32 v62, 0xbe11bafb, v10
	v_lshrrev_b32_e32 v10, 1, v56
	v_add_f32_e32 v4, v4, v43
	v_mul_u32_u24_e32 v10, 22, v10
	v_add_f32_e32 v4, v4, v64
	v_or_b32_e32 v10, v10, v108
	v_add_f32_e32 v4, v4, v6
	v_lshlrev_b32_e32 v10, 2, v10
	v_add_f32_e32 v4, v4, v7
	v_add_f32_e32 v5, v62, v5
	v_add3_u32 v62, 0, v10, v52
	v_add_f32_e32 v41, v71, v41
	v_add_f32_e32 v69, v70, v69
	ds_write2_b32 v62, v4, v32 offset1:2
	ds_write2_b32 v62, v34, v39 offset0:4 offset1:6
	ds_write2_b32 v62, v41, v69 offset0:8 offset1:10
	;; [unrolled: 1-line block ×4, first 2 shown]
	ds_write_b32 v62, v11 offset:80
	v_lshrrev_b32_e32 v39, 1, v57
	s_and_saveexec_b64 s[4:5], s[0:1]
	s_cbranch_execz .LBB0_18
; %bb.17:
	v_sub_f32_e32 v5, v45, v37
	v_add_f32_e32 v4, v38, v35
	v_mul_f32_e32 v10, 0xbe903f40, v5
	v_sub_f32_e32 v33, v44, v31
	v_fmamk_f32 v11, v4, 0xbf75a155, v10
	v_add_f32_e32 v32, v30, v19
	v_mul_f32_e32 v34, 0x3f0a6770, v33
	v_add_f32_e32 v11, v3, v11
	v_fmamk_f32 v36, v32, 0x3f575c64, v34
	v_sub_f32_e32 v40, v42, v18
	v_add_f32_e32 v11, v36, v11
	v_add_f32_e32 v36, v29, v17
	v_mul_f32_e32 v41, 0xbf4178ce, v40
	v_fmamk_f32 v69, v36, 0xbf27a4f4, v41
	v_sub_f32_e32 v70, v23, v21
	v_fma_f32 v10, v4, s14, -v10
	v_add_f32_e32 v11, v69, v11
	v_add_f32_e32 v69, v28, v16
	v_mul_f32_e32 v71, 0x3f68dda4, v70
	v_add_f32_e32 v10, v3, v10
	v_fma_f32 v34, v32, s12, -v34
	v_fmamk_f32 v72, v69, 0x3ed4b147, v71
	v_sub_f32_e32 v73, v22, v20
	v_add_f32_e32 v10, v34, v10
	v_fma_f32 v34, v36, s13, -v41
	v_add_f32_e32 v11, v72, v11
	v_add_f32_e32 v72, v14, v15
	v_mul_f32_e32 v74, 0xbf7d64f0, v73
	v_add_f32_e32 v10, v34, v10
	v_fma_f32 v34, v69, s10, -v71
	v_add_f32_e32 v10, v34, v10
	v_fma_f32 v34, v72, s11, -v74
	v_add_f32_e32 v10, v34, v10
	v_mul_f32_e32 v34, 0xbf4178ce, v5
	v_fmamk_f32 v41, v4, 0xbf27a4f4, v34
	v_mul_f32_e32 v71, 0x3f7d64f0, v33
	v_fmamk_f32 v75, v72, 0xbe11bafb, v74
	v_add_f32_e32 v41, v3, v41
	v_fmamk_f32 v74, v32, 0xbe11bafb, v71
	v_add_f32_e32 v41, v74, v41
	v_mul_f32_e32 v74, 0xbf0a6770, v40
	v_add_f32_e32 v11, v75, v11
	v_fmamk_f32 v75, v36, 0x3f575c64, v74
	v_fma_f32 v34, v4, s13, -v34
	v_add_f32_e32 v41, v75, v41
	v_mul_f32_e32 v75, 0xbe903f40, v70
	v_add_f32_e32 v34, v3, v34
	v_fma_f32 v71, v32, s11, -v71
	v_fmamk_f32 v76, v69, 0xbf75a155, v75
	v_add_f32_e32 v34, v71, v34
	v_fma_f32 v71, v36, s12, -v74
	v_add_f32_e32 v41, v76, v41
	v_mul_f32_e32 v76, 0x3f68dda4, v73
	v_add_f32_e32 v34, v71, v34
	v_fma_f32 v71, v69, s14, -v75
	v_add_f32_e32 v34, v71, v34
	v_fma_f32 v71, v72, s10, -v76
	v_add_f32_e32 v34, v71, v34
	v_mul_f32_e32 v71, 0xbf7d64f0, v5
	v_fmamk_f32 v74, v4, 0xbe11bafb, v71
	v_mul_f32_e32 v75, 0x3e903f40, v33
	v_fmamk_f32 v77, v72, 0x3ed4b147, v76
	v_add_f32_e32 v74, v3, v74
	v_fmamk_f32 v76, v32, 0xbf75a155, v75
	v_add_f32_e32 v74, v76, v74
	v_mul_f32_e32 v76, 0x3f68dda4, v40
	v_add_f32_e32 v41, v77, v41
	v_fmamk_f32 v77, v36, 0x3ed4b147, v76
	v_fma_f32 v71, v4, s11, -v71
	v_add_f32_e32 v74, v77, v74
	v_mul_f32_e32 v77, 0xbf0a6770, v70
	v_add_f32_e32 v71, v3, v71
	v_fma_f32 v75, v32, s14, -v75
	v_fmamk_f32 v78, v69, 0x3f575c64, v77
	v_add_f32_e32 v71, v75, v71
	v_fma_f32 v75, v36, s10, -v76
	;; [unrolled: 25-line block ×3, first 2 shown]
	v_add_f32_e32 v76, v80, v76
	v_mul_f32_e32 v80, 0x3f0a6770, v73
	v_add_f32_e32 v75, v77, v75
	v_fma_f32 v77, v69, s11, -v79
	v_add_f32_e32 v75, v77, v75
	v_fma_f32 v77, v72, s12, -v80
	v_mul_f32_e32 v5, 0xbf0a6770, v5
	v_add_f32_e32 v75, v77, v75
	v_fmamk_f32 v77, v4, 0x3f575c64, v5
	v_fma_f32 v4, v4, s12, -v5
	v_add_f32_e32 v77, v3, v77
	v_add_f32_e32 v4, v3, v4
	;; [unrolled: 1-line block ×3, first 2 shown]
	v_mul_f32_e32 v33, 0xbf68dda4, v33
	v_add_f32_e32 v3, v3, v30
	v_mul_f32_e32 v40, 0xbf7d64f0, v40
	v_fma_f32 v5, v32, s10, -v33
	v_add_f32_e32 v3, v3, v29
	v_mul_f32_e32 v70, 0xbf4178ce, v70
	v_add_f32_e32 v4, v5, v4
	v_fma_f32 v5, v36, s11, -v40
	v_add_f32_e32 v3, v3, v28
	v_mul_f32_e32 v73, 0xbe903f40, v73
	v_add_f32_e32 v4, v5, v4
	v_fma_f32 v5, v69, s13, -v70
	v_add_f32_e32 v3, v3, v14
	v_add_f32_e32 v4, v5, v4
	v_fma_f32 v5, v72, s14, -v73
	v_add_f32_e32 v3, v3, v15
	v_fmamk_f32 v78, v32, 0x3ed4b147, v33
	v_add_f32_e32 v4, v5, v4
	v_add_f32_e32 v3, v3, v16
	v_mul_lo_u32 v5, v39, 22
	v_add_f32_e32 v77, v78, v77
	v_fmamk_f32 v78, v36, 0xbe11bafb, v40
	v_add_f32_e32 v3, v3, v17
	v_or_b32_e32 v5, v5, v0
	v_add_f32_e32 v77, v78, v77
	v_fmamk_f32 v78, v69, 0xbf27a4f4, v70
	v_add_f32_e32 v3, v3, v19
	v_lshlrev_b32_e32 v5, 2, v5
	v_fmamk_f32 v81, v72, 0x3f575c64, v80
	v_add_f32_e32 v77, v78, v77
	v_fmamk_f32 v78, v72, 0xbf75a155, v73
	v_add_f32_e32 v3, v3, v35
	v_add3_u32 v5, 0, v5, v52
	v_add_f32_e32 v76, v81, v76
	v_add_f32_e32 v77, v78, v77
	ds_write2_b32 v5, v3, v4 offset1:2
	ds_write2_b32 v5, v75, v71 offset0:4 offset1:6
	ds_write2_b32 v5, v34, v10 offset0:8 offset1:10
	;; [unrolled: 1-line block ×4, first 2 shown]
	ds_write_b32 v5, v77 offset:80
.LBB0_18:
	s_or_b64 exec, exec, s[4:5]
	v_add_f32_e32 v3, v2, v66
	v_add_f32_e32 v3, v3, v61
	;; [unrolled: 1-line block ×9, first 2 shown]
	v_sub_f32_e32 v4, v67, v7
	v_add_f32_e32 v69, v3, v68
	v_add_f32_e32 v3, v66, v68
	v_mul_f32_e32 v5, 0xbf0a6770, v4
	v_mul_f32_e32 v10, 0xbf68dda4, v4
	v_mul_f32_e32 v32, 0xbf7d64f0, v4
	v_mul_f32_e32 v34, 0xbf4178ce, v4
	v_mul_f32_e32 v4, 0xbe903f40, v4
	v_fmamk_f32 v7, v3, 0x3f575c64, v5
	v_fma_f32 v5, v3, s12, -v5
	v_fmamk_f32 v11, v3, 0x3ed4b147, v10
	v_fma_f32 v10, v3, s10, -v10
	;; [unrolled: 2-line block ×5, first 2 shown]
	v_sub_f32_e32 v4, v63, v6
	v_add_f32_e32 v7, v2, v7
	v_add_f32_e32 v5, v2, v5
	;; [unrolled: 1-line block ×11, first 2 shown]
	v_mul_f32_e32 v6, 0xbf68dda4, v4
	v_fmamk_f32 v41, v3, 0x3ed4b147, v6
	v_fma_f32 v6, v3, s10, -v6
	v_add_f32_e32 v5, v6, v5
	v_mul_f32_e32 v6, 0xbf4178ce, v4
	v_add_f32_e32 v7, v41, v7
	v_fmamk_f32 v41, v3, 0xbf27a4f4, v6
	v_fma_f32 v6, v3, s13, -v6
	v_add_f32_e32 v6, v6, v10
	v_mul_f32_e32 v10, 0x3e903f40, v4
	v_add_f32_e32 v11, v41, v11
	;; [unrolled: 5-line block ×3, first 2 shown]
	v_fmamk_f32 v41, v3, 0xbe11bafb, v32
	v_fma_f32 v32, v3, s11, -v32
	v_mul_f32_e32 v4, 0x3f0a6770, v4
	v_add_f32_e32 v32, v32, v34
	v_fmamk_f32 v34, v3, 0x3f575c64, v4
	v_fma_f32 v3, v3, s12, -v4
	v_sub_f32_e32 v4, v53, v64
	v_add_f32_e32 v34, v34, v40
	v_add_f32_e32 v2, v3, v2
	;; [unrolled: 1-line block ×3, first 2 shown]
	v_mul_f32_e32 v40, 0xbf7d64f0, v4
	v_add_f32_e32 v36, v41, v36
	v_fmamk_f32 v41, v3, 0xbe11bafb, v40
	v_fma_f32 v40, v3, s11, -v40
	v_add_f32_e32 v5, v40, v5
	v_mul_f32_e32 v40, 0x3e903f40, v4
	v_add_f32_e32 v7, v41, v7
	v_fmamk_f32 v41, v3, 0xbf75a155, v40
	v_fma_f32 v40, v3, s14, -v40
	v_add_f32_e32 v6, v40, v6
	;; [unrolled: 5-line block ×3, first 2 shown]
	v_mul_f32_e32 v40, 0xbf0a6770, v4
	v_add_f32_e32 v33, v41, v33
	v_fmamk_f32 v41, v3, 0x3f575c64, v40
	v_fma_f32 v40, v3, s12, -v40
	v_mul_f32_e32 v4, 0xbf4178ce, v4
	v_add_f32_e32 v32, v40, v32
	v_fmamk_f32 v40, v3, 0xbf27a4f4, v4
	v_fma_f32 v3, v3, s13, -v4
	v_sub_f32_e32 v4, v47, v43
	v_add_f32_e32 v34, v40, v34
	v_add_f32_e32 v2, v3, v2
	;; [unrolled: 1-line block ×3, first 2 shown]
	v_mul_f32_e32 v40, 0xbf4178ce, v4
	v_add_f32_e32 v36, v41, v36
	v_fmamk_f32 v41, v3, 0xbf27a4f4, v40
	v_fma_f32 v40, v3, s13, -v40
	v_add_f32_e32 v5, v40, v5
	v_mul_f32_e32 v40, 0x3f7d64f0, v4
	v_add_f32_e32 v7, v41, v7
	v_fmamk_f32 v41, v3, 0xbe11bafb, v40
	v_fma_f32 v40, v3, s11, -v40
	v_add_f32_e32 v6, v40, v6
	;; [unrolled: 5-line block ×3, first 2 shown]
	v_mul_f32_e32 v40, 0xbe903f40, v4
	v_add_f32_e32 v33, v41, v33
	v_fmamk_f32 v41, v3, 0xbf75a155, v40
	v_fma_f32 v40, v3, s14, -v40
	v_mul_f32_e32 v4, 0x3f68dda4, v4
	v_add_f32_e32 v32, v40, v32
	v_fmamk_f32 v40, v3, 0x3ed4b147, v4
	v_fma_f32 v3, v3, s10, -v4
	v_sub_f32_e32 v4, v24, v25
	v_add_f32_e32 v2, v3, v2
	v_add_f32_e32 v3, v26, v27
	v_mul_f32_e32 v24, 0xbe903f40, v4
	v_fmamk_f32 v25, v3, 0xbf75a155, v24
	v_add_f32_e32 v51, v25, v7
	v_fma_f32 v7, v3, s14, -v24
	v_add_f32_e32 v53, v7, v5
	v_mul_f32_e32 v5, 0x3f0a6770, v4
	v_fmamk_f32 v7, v3, 0x3f575c64, v5
	v_fma_f32 v5, v3, s12, -v5
	v_add_f32_e32 v61, v5, v6
	v_mul_f32_e32 v5, 0xbf4178ce, v4
	v_fmamk_f32 v6, v3, 0xbf27a4f4, v5
	v_fma_f32 v5, v3, s13, -v5
	v_add_f32_e32 v64, v5, v10
	v_mul_f32_e32 v5, 0x3f68dda4, v4
	v_add_f32_e32 v63, v6, v33
	v_fmamk_f32 v6, v3, 0x3ed4b147, v5
	v_fma_f32 v5, v3, s10, -v5
	v_mul_f32_e32 v4, 0xbf7d64f0, v4
	v_add_f32_e32 v66, v5, v32
	v_fmamk_f32 v5, v3, 0xbe11bafb, v4
	v_fma_f32 v3, v3, s11, -v4
	v_add_f32_e32 v68, v3, v2
	v_lshlrev_b32_e32 v2, 2, v58
	v_add_f32_e32 v36, v41, v36
	v_add_f32_e32 v34, v40, v34
	v_add3_u32 v24, 0, v2, v52
	v_lshlrev_b32_e32 v2, 2, v59
	v_add_f32_e32 v65, v6, v36
	v_add_f32_e32 v67, v5, v34
	v_add3_u32 v25, 0, v2, v52
	v_lshlrev_b32_e32 v2, 2, v60
	v_add_u32_e32 v36, 0x800, v50
	v_add_u32_e32 v34, 0xa00, v50
	;; [unrolled: 1-line block ×4, first 2 shown]
	v_add_f32_e32 v55, v7, v11
	s_waitcnt lgkmcnt(0)
	s_barrier
	ds_read_b32 v41, v48
	v_add3_u32 v26, 0, v2, v52
	ds_read2_b32 v[2:3], v36 offset0:27 offset1:104
	ds_read2_b32 v[4:5], v34 offset0:53 offset1:130
	;; [unrolled: 1-line block ×3, first 2 shown]
	v_add3_u32 v27, 0, v54, v52
	ds_read_b32 v47, v25
	ds_read_b32 v46, v26
	;; [unrolled: 1-line block ×3, first 2 shown]
	ds_read2_b32 v[10:11], v32 offset0:39 offset1:193
	ds_read_b32 v49, v24
	ds_read_b32 v43, v50 offset:4004
	s_waitcnt lgkmcnt(0)
	s_barrier
	ds_write2_b32 v62, v69, v51 offset1:2
	ds_write2_b32 v62, v55, v63 offset0:4 offset1:6
	ds_write2_b32 v62, v65, v67 offset0:8 offset1:10
	;; [unrolled: 1-line block ×4, first 2 shown]
	ds_write_b32 v62, v53 offset:80
	s_and_saveexec_b64 s[4:5], s[0:1]
	s_cbranch_execz .LBB0_20
; %bb.19:
	v_add_f32_e32 v51, v1, v45
	v_add_f32_e32 v51, v51, v44
	;; [unrolled: 1-line block ×9, first 2 shown]
	v_sub_f32_e32 v35, v38, v35
	v_add_f32_e32 v51, v51, v37
	v_add_f32_e32 v37, v45, v37
	v_mul_f32_e32 v38, 0xbf0a6770, v35
	s_mov_b32 s0, 0x3f575c64
	v_mul_f32_e32 v53, 0xbf68dda4, v35
	s_mov_b32 s1, 0x3ed4b147
	;; [unrolled: 2-line block ×5, first 2 shown]
	v_sub_f32_e32 v19, v30, v19
	v_fmamk_f32 v45, v37, 0x3f575c64, v38
	v_fma_f32 v38, v37, s0, -v38
	v_fmamk_f32 v54, v37, 0x3ed4b147, v53
	v_fma_f32 v53, v37, s1, -v53
	;; [unrolled: 2-line block ×5, first 2 shown]
	v_add_f32_e32 v31, v44, v31
	v_mul_f32_e32 v30, 0xbf68dda4, v19
	v_add_f32_e32 v45, v1, v45
	v_add_f32_e32 v38, v1, v38
	;; [unrolled: 1-line block ×10, first 2 shown]
	v_fmamk_f32 v35, v31, 0x3ed4b147, v30
	v_fma_f32 v30, v31, s1, -v30
	v_mul_f32_e32 v37, 0xbf4178ce, v19
	v_add_f32_e32 v30, v30, v38
	v_fmamk_f32 v38, v31, 0xbf27a4f4, v37
	v_fma_f32 v37, v31, s11, -v37
	v_mul_f32_e32 v44, 0x3e903f40, v19
	v_add_f32_e32 v35, v35, v45
	v_add_f32_e32 v37, v37, v53
	v_fmamk_f32 v45, v31, 0xbf75a155, v44
	v_fma_f32 v44, v31, s12, -v44
	v_mul_f32_e32 v53, 0x3f7d64f0, v19
	v_mul_f32_e32 v19, 0x3f0a6770, v19
	v_add_f32_e32 v44, v44, v55
	v_fmamk_f32 v55, v31, 0x3f575c64, v19
	v_fma_f32 v19, v31, s0, -v19
	v_sub_f32_e32 v17, v29, v17
	v_add_f32_e32 v1, v19, v1
	v_add_f32_e32 v18, v42, v18
	v_mul_f32_e32 v19, 0xbf7d64f0, v17
	v_fmamk_f32 v29, v18, 0xbe11bafb, v19
	v_fma_f32 v19, v18, s10, -v19
	v_add_f32_e32 v19, v19, v30
	v_mul_f32_e32 v30, 0x3e903f40, v17
	v_add_f32_e32 v38, v38, v54
	v_fmamk_f32 v54, v31, 0xbe11bafb, v53
	v_fma_f32 v53, v31, s10, -v53
	v_add_f32_e32 v29, v29, v35
	v_fmamk_f32 v31, v18, 0xbf75a155, v30
	v_fma_f32 v30, v18, s12, -v30
	v_mul_f32_e32 v35, 0x3f68dda4, v17
	v_add_f32_e32 v31, v31, v38
	v_add_f32_e32 v30, v30, v37
	v_fmamk_f32 v37, v18, 0x3ed4b147, v35
	v_fma_f32 v35, v18, s1, -v35
	v_mul_f32_e32 v38, 0xbf0a6770, v17
	v_mul_f32_e32 v17, 0xbf4178ce, v17
	v_add_f32_e32 v35, v35, v44
	v_fmamk_f32 v44, v18, 0xbf27a4f4, v17
	v_fma_f32 v17, v18, s11, -v17
	v_sub_f32_e32 v16, v28, v16
	v_fmamk_f32 v42, v18, 0x3f575c64, v38
	v_fma_f32 v38, v18, s0, -v38
	v_add_f32_e32 v1, v17, v1
	v_add_f32_e32 v17, v23, v21
	v_mul_f32_e32 v18, 0xbf4178ce, v16
	v_fmamk_f32 v21, v17, 0xbf27a4f4, v18
	v_fma_f32 v18, v17, s11, -v18
	v_add_f32_e32 v18, v18, v19
	v_mul_f32_e32 v19, 0x3f7d64f0, v16
	v_fmamk_f32 v23, v17, 0xbe11bafb, v19
	v_fma_f32 v19, v17, s10, -v19
	v_mul_f32_e32 v28, 0xbf0a6770, v16
	v_add_f32_e32 v21, v21, v29
	v_add_f32_e32 v19, v19, v30
	v_fmamk_f32 v29, v17, 0x3f575c64, v28
	v_fma_f32 v28, v17, s0, -v28
	v_mul_f32_e32 v30, 0xbe903f40, v16
	v_mul_f32_e32 v16, 0x3f68dda4, v16
	v_add_f32_e32 v28, v28, v35
	v_fmamk_f32 v35, v17, 0x3ed4b147, v16
	v_fma_f32 v16, v17, s1, -v16
	v_sub_f32_e32 v14, v14, v15
	v_add_f32_e32 v1, v16, v1
	v_add_f32_e32 v16, v22, v20
	v_mul_f32_e32 v15, 0xbe903f40, v14
	v_add_f32_e32 v23, v23, v31
	v_fmamk_f32 v31, v17, 0xbf75a155, v30
	v_fma_f32 v30, v17, s12, -v30
	v_fmamk_f32 v17, v16, 0xbf75a155, v15
	v_fma_f32 v15, v16, s12, -v15
	v_add_f32_e32 v15, v15, v18
	v_mul_f32_e32 v18, 0x3f0a6770, v14
	v_fmamk_f32 v20, v16, 0x3f575c64, v18
	v_fma_f32 v18, v16, s0, -v18
	v_add_f32_e32 v18, v18, v19
	v_mul_f32_e32 v19, 0xbf4178ce, v14
	v_add_f32_e32 v17, v17, v21
	v_fmamk_f32 v21, v16, 0xbf27a4f4, v19
	v_fma_f32 v19, v16, s11, -v19
	v_mul_f32_e32 v22, 0x3f68dda4, v14
	v_mul_f32_e32 v14, 0xbf7d64f0, v14
	v_add_f32_e32 v19, v19, v28
	v_fmamk_f32 v28, v16, 0xbe11bafb, v14
	v_fma_f32 v14, v16, s10, -v14
	v_add_f32_e32 v1, v14, v1
	v_mul_lo_u32 v14, v39, 22
	v_add_f32_e32 v45, v45, v58
	v_add_f32_e32 v54, v54, v60
	v_add_f32_e32 v53, v53, v59
	v_add_f32_e32 v55, v55, v61
	v_or_b32_e32 v0, v14, v0
	v_add_f32_e32 v37, v37, v45
	v_add_f32_e32 v42, v42, v54
	v_add_f32_e32 v38, v38, v53
	v_add_f32_e32 v44, v44, v55
	v_lshlrev_b32_e32 v0, 2, v0
	v_add_f32_e32 v29, v29, v37
	v_add_f32_e32 v31, v31, v42
	;; [unrolled: 1-line block ×5, first 2 shown]
	v_fmamk_f32 v23, v16, 0x3ed4b147, v22
	v_fma_f32 v22, v16, s1, -v22
	v_add3_u32 v0, 0, v0, v52
	v_add_f32_e32 v21, v21, v29
	v_add_f32_e32 v23, v23, v31
	v_add_f32_e32 v22, v22, v30
	v_add_f32_e32 v28, v28, v35
	ds_write2_b32 v0, v51, v17 offset1:2
	ds_write2_b32 v0, v20, v21 offset0:4 offset1:6
	ds_write2_b32 v0, v23, v28 offset0:8 offset1:10
	;; [unrolled: 1-line block ×4, first 2 shown]
	ds_write_b32 v0, v15 offset:80
.LBB0_20:
	s_or_b64 exec, exec, s[4:5]
	v_lshrrev_b16_e32 v0, 1, v56
	v_and_b32_e32 v0, 0x7f, v0
	v_mul_lo_u16_e32 v0, 0xbb, v0
	v_lshrrev_b16_e32 v22, 1, v57
	v_lshrrev_b16_e32 v35, 11, v0
	v_and_b32_e32 v22, 0x7f, v22
	v_mul_lo_u16_e32 v0, 22, v35
	v_mul_lo_u16_e32 v22, 0xbb, v22
	v_sub_u16_e32 v37, v56, v0
	v_mov_b32_e32 v0, 6
	v_lshrrev_b16_e32 v42, 11, v22
	v_mul_u32_u24_sdwa v1, v37, v0 dst_sel:DWORD dst_unused:UNUSED_PAD src0_sel:BYTE_0 src1_sel:DWORD
	v_mul_lo_u16_e32 v22, 22, v42
	v_lshlrev_b32_e32 v1, 3, v1
	v_sub_u16_e32 v51, v57, v22
	s_waitcnt lgkmcnt(0)
	s_barrier
	global_load_dwordx4 v[14:17], v1, s[8:9] offset:160
	global_load_dwordx4 v[18:21], v1, s[8:9] offset:176
	;; [unrolled: 1-line block ×3, first 2 shown]
	v_mul_u32_u24_sdwa v0, v51, v0 dst_sel:DWORD dst_unused:UNUSED_PAD src0_sel:BYTE_0 src1_sel:DWORD
	v_lshlrev_b32_e32 v0, 3, v0
	global_load_dwordx4 v[58:61], v0, s[8:9] offset:160
	global_load_dwordx4 v[62:65], v0, s[8:9] offset:176
	global_load_dwordx4 v[66:69], v0, s[8:9] offset:192
	ds_read_b32 v53, v48
	ds_read2_b32 v[0:1], v36 offset0:27 offset1:104
	ds_read2_b32 v[22:23], v34 offset0:53 offset1:130
	;; [unrolled: 1-line block ×3, first 2 shown]
	ds_read_b32 v54, v24
	ds_read_b32 v55, v25
	ds_read_b32 v70, v26
	ds_read_b32 v71, v27
	ds_read2_b32 v[44:45], v32 offset0:39 offset1:193
	ds_read_b32 v72, v50 offset:4004
	s_mov_b32 s0, 0x3f5ff5aa
	s_mov_b32 s4, 0x3f3bfb3b
	;; [unrolled: 1-line block ×4, first 2 shown]
	s_waitcnt lgkmcnt(0)
	s_barrier
	s_mov_b32 s14, 0x3f4a47b2
	s_mov_b32 s12, 0x3eae86e6
	s_mov_b32 s15, 0x3d64c772
	s_mov_b32 s13, 0xbf08b237
	s_mov_b32 s10, 0x3ee1c552
	s_waitcnt vmcnt(5)
	v_mul_f32_e32 v73, v54, v15
	v_mul_f32_e32 v15, v49, v15
	;; [unrolled: 1-line block ×4, first 2 shown]
	s_waitcnt vmcnt(4)
	v_mul_f32_e32 v76, v1, v21
	v_mul_f32_e32 v21, v3, v21
	s_waitcnt vmcnt(3)
	v_mul_f32_e32 v77, v23, v29
	v_mul_f32_e32 v29, v5, v29
	;; [unrolled: 1-line block ×6, first 2 shown]
	s_waitcnt vmcnt(2)
	v_mul_f32_e32 v79, v44, v59
	v_mul_f32_e32 v80, v45, v61
	s_waitcnt vmcnt(1)
	v_mul_f32_e32 v82, v22, v65
	v_mul_f32_e32 v65, v4, v65
	v_fma_f32 v49, v49, v14, -v73
	v_fmac_f32_e32 v15, v54, v14
	v_fma_f32 v14, v47, v16, -v74
	v_fmac_f32_e32 v17, v55, v16
	v_fmac_f32_e32 v21, v1, v20
	v_fma_f32 v1, v5, v28, -v77
	v_fmac_f32_e32 v29, v23, v28
	v_fma_f32 v5, v7, v30, -v78
	v_fmac_f32_e32 v31, v39, v30
	v_mul_f32_e32 v59, v10, v59
	v_mul_f32_e32 v61, v11, v61
	v_fma_f32 v16, v46, v18, -v75
	v_fmac_f32_e32 v19, v70, v18
	v_fma_f32 v3, v3, v20, -v76
	v_fma_f32 v7, v10, v58, -v79
	;; [unrolled: 1-line block ×3, first 2 shown]
	v_fmac_f32_e32 v65, v22, v64
	v_add_f32_e32 v11, v49, v5
	v_add_f32_e32 v18, v15, v31
	;; [unrolled: 1-line block ×4, first 2 shown]
	s_waitcnt vmcnt(0)
	v_mul_f32_e32 v83, v38, v67
	v_mul_f32_e32 v67, v6, v67
	v_sub_f32_e32 v5, v49, v5
	v_sub_f32_e32 v15, v15, v31
	v_sub_f32_e32 v1, v14, v1
	v_sub_f32_e32 v14, v17, v29
	v_add_f32_e32 v17, v16, v3
	v_add_f32_e32 v23, v19, v21
	v_sub_f32_e32 v3, v3, v16
	v_sub_f32_e32 v16, v21, v19
	v_add_f32_e32 v19, v20, v11
	v_add_f32_e32 v21, v22, v18
	v_mul_f32_e32 v81, v0, v63
	v_mul_f32_e32 v63, v2, v63
	;; [unrolled: 1-line block ×3, first 2 shown]
	v_fmac_f32_e32 v67, v38, v66
	v_sub_f32_e32 v28, v20, v11
	v_sub_f32_e32 v29, v22, v18
	;; [unrolled: 1-line block ×6, first 2 shown]
	v_add_f32_e32 v30, v3, v1
	v_add_f32_e32 v31, v16, v14
	v_sub_f32_e32 v38, v3, v1
	v_sub_f32_e32 v39, v16, v14
	;; [unrolled: 1-line block ×4, first 2 shown]
	v_add_f32_e32 v17, v17, v19
	v_add_f32_e32 v19, v23, v21
	v_mul_f32_e32 v69, v43, v69
	v_fmac_f32_e32 v63, v0, v62
	v_fma_f32 v0, v4, v64, -v82
	v_fma_f32 v4, v6, v66, -v83
	;; [unrolled: 1-line block ×3, first 2 shown]
	v_sub_f32_e32 v3, v5, v3
	v_sub_f32_e32 v16, v15, v16
	v_add_f32_e32 v5, v30, v5
	v_add_f32_e32 v15, v31, v15
	;; [unrolled: 1-line block ×4, first 2 shown]
	v_mul_f32_e32 v11, 0x3f4a47b2, v11
	v_mul_f32_e32 v18, 0x3f4a47b2, v18
	;; [unrolled: 1-line block ×8, first 2 shown]
	v_fmamk_f32 v17, v17, 0xbf955555, v21
	v_fmamk_f32 v19, v19, 0xbf955555, v31
	v_fma_f32 v23, v28, s4, -v23
	v_fma_f32 v30, v29, s4, -v30
	;; [unrolled: 1-line block ×3, first 2 shown]
	v_fmac_f32_e32 v11, 0x3d64c772, v20
	v_fma_f32 v20, v29, s1, -v18
	v_fmac_f32_e32 v18, 0x3d64c772, v22
	v_fma_f32 v1, v1, s0, -v38
	v_fmac_f32_e32 v38, 0x3eae86e6, v3
	v_fma_f32 v14, v14, s0, -v39
	v_fmac_f32_e32 v39, 0x3eae86e6, v16
	v_fma_f32 v3, v3, s5, -v41
	v_fma_f32 v16, v16, s5, -v43
	v_fmac_f32_e32 v59, v44, v58
	v_fmac_f32_e32 v61, v45, v60
	;; [unrolled: 1-line block ×3, first 2 shown]
	v_add_f32_e32 v11, v11, v17
	v_add_f32_e32 v18, v18, v19
	;; [unrolled: 1-line block ×6, first 2 shown]
	v_fmac_f32_e32 v38, 0x3ee1c552, v5
	v_fmac_f32_e32 v39, 0x3ee1c552, v15
	;; [unrolled: 1-line block ×5, first 2 shown]
	v_fma_f32 v2, v2, v62, -v81
	v_fmac_f32_e32 v1, 0x3ee1c552, v5
	v_add_f32_e32 v5, v39, v11
	v_sub_f32_e32 v15, v18, v38
	v_add_f32_e32 v20, v16, v17
	v_sub_f32_e32 v28, v19, v3
	v_sub_f32_e32 v29, v22, v14
	v_add_f32_e32 v14, v14, v22
	v_sub_f32_e32 v16, v17, v16
	v_add_f32_e32 v3, v3, v19
	;; [unrolled: 2-line block ×3, first 2 shown]
	v_add_f32_e32 v17, v7, v6
	v_add_f32_e32 v18, v59, v69
	;; [unrolled: 1-line block ×5, first 2 shown]
	v_sub_f32_e32 v1, v23, v1
	v_sub_f32_e32 v6, v7, v6
	;; [unrolled: 1-line block ×4, first 2 shown]
	v_add_f32_e32 v23, v2, v0
	v_add_f32_e32 v30, v63, v65
	v_sub_f32_e32 v0, v0, v2
	v_sub_f32_e32 v2, v65, v63
	v_add_f32_e32 v38, v19, v17
	v_add_f32_e32 v43, v22, v18
	v_sub_f32_e32 v7, v59, v69
	v_sub_f32_e32 v44, v19, v17
	;; [unrolled: 1-line block ×7, first 2 shown]
	v_add_f32_e32 v46, v0, v4
	v_add_f32_e32 v47, v2, v10
	v_sub_f32_e32 v49, v0, v4
	v_sub_f32_e32 v53, v2, v10
	;; [unrolled: 1-line block ×3, first 2 shown]
	v_add_f32_e32 v23, v23, v38
	v_add_f32_e32 v30, v30, v43
	v_sub_f32_e32 v0, v6, v0
	v_sub_f32_e32 v2, v7, v2
	;; [unrolled: 1-line block ×3, first 2 shown]
	v_add_f32_e32 v7, v47, v7
	v_add_f32_e32 v38, v40, v23
	;; [unrolled: 1-line block ×3, first 2 shown]
	v_mul_f32_e32 v17, 0x3f4a47b2, v17
	v_mul_f32_e32 v18, 0x3f4a47b2, v18
	;; [unrolled: 1-line block ×6, first 2 shown]
	v_add_f32_e32 v6, v46, v6
	v_fmamk_f32 v30, v30, 0xbf955555, v40
	v_fma_f32 v43, v44, s4, -v43
	v_fma_f32 v44, v44, s1, -v17
	v_fmac_f32_e32 v17, 0x3d64c772, v19
	v_fma_f32 v19, v45, s1, -v18
	v_fma_f32 v4, v4, s0, -v47
	v_fmac_f32_e32 v47, 0x3eae86e6, v0
	v_fma_f32 v0, v0, s5, -v53
	v_mul_f32_e32 v46, 0x3d64c772, v22
	v_mul_f32_e32 v54, 0x3f5ff5aa, v10
	v_fmamk_f32 v23, v23, 0xbf955555, v38
	v_fmac_f32_e32 v18, 0x3d64c772, v22
	v_fma_f32 v10, v10, s0, -v49
	v_fmac_f32_e32 v49, 0x3eae86e6, v2
	v_add_f32_e32 v19, v19, v30
	v_fmac_f32_e32 v0, 0x3ee1c552, v6
	v_fma_f32 v46, v45, s4, -v46
	v_fma_f32 v2, v2, s5, -v54
	v_add_f32_e32 v17, v17, v23
	v_add_f32_e32 v18, v18, v30
	;; [unrolled: 1-line block ×3, first 2 shown]
	v_fmac_f32_e32 v47, 0x3ee1c552, v6
	v_fmac_f32_e32 v49, 0x3ee1c552, v7
	;; [unrolled: 1-line block ×3, first 2 shown]
	v_sub_f32_e32 v45, v19, v0
	v_add_f32_e32 v0, v0, v19
	s_movk_i32 s1, 0x268
	v_mov_b32_e32 v19, 2
	v_add_f32_e32 v23, v44, v23
	v_fmac_f32_e32 v4, 0x3ee1c552, v6
	v_fmac_f32_e32 v2, 0x3ee1c552, v7
	v_add_f32_e32 v6, v49, v17
	v_sub_f32_e32 v7, v18, v47
	v_sub_f32_e32 v44, v22, v10
	v_add_f32_e32 v10, v10, v22
	v_sub_f32_e32 v17, v17, v49
	v_add_f32_e32 v49, v47, v18
	v_mad_u32_u24 v18, v35, s1, 0
	v_lshlrev_b32_sdwa v22, v19, v37 dst_sel:DWORD dst_unused:UNUSED_PAD src0_sel:DWORD src1_sel:BYTE_0
	v_add3_u32 v35, v18, v22, v52
	ds_write2_b32 v35, v21, v5 offset1:22
	ds_write2_b32 v35, v20, v29 offset0:44 offset1:66
	ds_write2_b32 v35, v14, v16 offset0:88 offset1:110
	ds_write_b32 v35, v11 offset:528
	v_mad_u32_u24 v5, v42, s1, 0
	v_lshlrev_b32_sdwa v11, v19, v51 dst_sel:DWORD dst_unused:UNUSED_PAD src0_sel:DWORD src1_sel:BYTE_0
	v_add_f32_e32 v43, v46, v30
	v_add_f32_e32 v30, v2, v23
	v_add3_u32 v5, v5, v11, v52
	v_add_f32_e32 v46, v4, v43
	v_sub_f32_e32 v4, v43, v4
	v_sub_f32_e32 v2, v23, v2
	ds_write2_b32 v5, v38, v6 offset1:22
	ds_write2_b32 v5, v30, v44 offset0:44 offset1:66
	ds_write2_b32 v5, v10, v2 offset0:88 offset1:110
	ds_write_b32 v5, v17 offset:528
	s_waitcnt lgkmcnt(0)
	s_barrier
	ds_read_b32 v38, v48
	ds_read2_b32 v[18:19], v36 offset0:27 offset1:104
	ds_read2_b32 v[16:17], v34 offset0:53 offset1:130
	;; [unrolled: 1-line block ×3, first 2 shown]
	ds_read_b32 v47, v26
	ds_read_b32 v14, v27
	ds_read2_b32 v[20:21], v32 offset0:39 offset1:193
	ds_read_b32 v44, v25
	ds_read_b32 v43, v24
	ds_read_b32 v30, v50 offset:4004
	s_waitcnt lgkmcnt(0)
	s_barrier
	ds_write2_b32 v35, v31, v15 offset1:22
	ds_write2_b32 v35, v28, v41 offset0:44 offset1:66
	ds_write2_b32 v35, v1, v3 offset0:88 offset1:110
	ds_write_b32 v35, v39 offset:528
	ds_write2_b32 v5, v40, v7 offset1:22
	ds_write2_b32 v5, v45, v46 offset0:44 offset1:66
	ds_write2_b32 v5, v4, v0 offset0:88 offset1:110
	ds_write_b32 v5, v49 offset:528
	s_waitcnt lgkmcnt(0)
	s_barrier
	s_and_saveexec_b64 s[18:19], vcc
	s_cbranch_execz .LBB0_22
; %bb.21:
	v_mul_i32_i24_e32 v0, 6, v57
	v_mov_b32_e32 v1, 0
	v_mul_u32_u24_e32 v15, 6, v56
	v_lshl_add_u64 v[10:11], v[0:1], 3, s[8:9]
	v_lshlrev_b32_e32 v15, 3, v15
	global_load_dwordx4 v[0:3], v[10:11], off offset:1216
	global_load_dwordx4 v[4:7], v[10:11], off offset:1248
	global_load_dwordx4 v[52:55], v15, s[8:9] offset:1216
	global_load_dwordx4 v[58:61], v15, s[8:9] offset:1248
	global_load_dwordx4 v[62:65], v15, s[8:9] offset:1232
	v_mul_lo_u32 v28, s3, v8
	v_mul_lo_u32 v9, s2, v9
	v_mad_u64_u32 v[32:33], s[2:3], s2, v8, 0
	v_add_u32_e32 v8, 0x300, v50
	v_add_u32_e32 v29, 0xa00, v50
	;; [unrolled: 1-line block ×4, first 2 shown]
	ds_read_b32 v15, v27
	ds_read_b32 v49, v26
	;; [unrolled: 1-line block ×4, first 2 shown]
	ds_read_b32 v92, v50 offset:4004
	ds_read_b32 v39, v48
	v_add3_u32 v33, v33, v9, v28
	ds_read2_b32 v[26:27], v8 offset0:39 offset1:193
	ds_read2_b32 v[24:25], v29 offset0:53 offset1:130
	;; [unrolled: 1-line block ×4, first 2 shown]
	global_load_dwordx4 v[8:11], v[10:11], off offset:1232
	s_mov_b32 s1, 0x3531dec1
	v_mul_hi_u32 v31, v56, s1
	s_movk_i32 s5, 0x9a
	v_lshrrev_b32_e32 v31, 5, v31
	v_mul_lo_u32 v31, v31, s5
	v_sub_u32_e32 v57, v56, v31
	v_lshl_add_u64 v[32:33], v[32:33], 3, s[6:7]
	v_mad_u64_u32 v[68:69], s[2:3], s16, v57, 0
	v_add_u32_e32 v31, 0x9a, v57
	v_lshl_add_u64 v[40:41], v[12:13], 3, v[32:33]
	v_add_u32_e32 v33, 0x134, v57
	v_add_u32_e32 v35, 0x1ce, v57
	;; [unrolled: 1-line block ×3, first 2 shown]
	v_mov_b32_e32 v12, v69
	v_mad_u64_u32 v[70:71], s[2:3], s16, v31, 0
	v_mad_u64_u32 v[72:73], s[2:3], s16, v33, 0
	;; [unrolled: 1-line block ×5, first 2 shown]
	v_mov_b32_e32 v32, v71
	v_mov_b32_e32 v34, v73
	;; [unrolled: 1-line block ×5, first 2 shown]
	v_mad_u64_u32 v[12:13], s[2:3], s17, v31, v[32:33]
	v_mad_u64_u32 v[32:33], s[2:3], s17, v33, v[34:35]
	;; [unrolled: 1-line block ×4, first 2 shown]
	v_mov_b32_e32 v71, v12
	s_waitcnt lgkmcnt(2)
	v_mov_b32_e32 v46, v25
	v_mov_b32_e32 v48, v17
	;; [unrolled: 1-line block ×3, first 2 shown]
	s_waitcnt lgkmcnt(0)
	v_mov_b32_e32 v89, v37
	v_mov_b32_e32 v67, v19
	;; [unrolled: 1-line block ×8, first 2 shown]
	s_mov_b32 s8, 0x3f955555
	s_mov_b32 s6, s15
	;; [unrolled: 1-line block ×3, first 2 shown]
	v_add_u32_e32 v19, 0x39c, v57
	v_mov_b32_e32 v29, v92
	s_waitcnt vmcnt(3)
	v_mul_f32_e32 v33, v51, v53
	v_mul_f32_e32 v12, v26, v1
	s_waitcnt vmcnt(2)
	v_mov_b32_e32 v84, v59
	s_waitcnt vmcnt(1)
	v_mov_b32_e32 v85, v63
	v_mul_f32_e32 v35, v37, v61
	v_mul_f32_e32 v80, v17, v59
	v_fma_f32 v13, v20, v0, -v12
	v_mov_b32_e32 v12, v17
	v_mov_b32_e32 v82, v58
	;; [unrolled: 1-line block ×3, first 2 shown]
	v_pk_mul_f32 v[84:85], v[46:47], v[84:85]
	v_fma_f32 v79, v23, v60, -v35
	v_fmac_f32_e32 v80, v58, v25
	v_add_u32_e32 v35, 0x302, v57
	v_pk_fma_f32 v[58:59], v[12:13], v[58:59], v[84:85] neg_lo:[0,0,1] neg_hi:[0,0,1]
	v_pk_fma_f32 v[82:83], v[48:49], v[82:83], v[84:85]
	v_mov_b32_e32 v85, v60
	v_mov_b32_e32 v48, v49
	;; [unrolled: 1-line block ×4, first 2 shown]
	v_pk_mul_f32 v[48:49], v[48:49], v[60:61]
	v_mad_u64_u32 v[60:61], s[2:3], s16, v35, 0
	v_mov_b32_e32 v12, v61
	v_mad_u64_u32 v[86:87], s[2:3], s17, v35, v[12:13]
	v_mov_b32_e32 v84, v62
	v_mov_b32_e32 v12, v47
	v_fma_f32 v87, v43, v52, -v33
	v_pk_fma_f32 v[84:85], v[88:89], v[84:85], v[48:49]
	v_pk_fma_f32 v[46:47], v[12:13], v[62:63], v[48:49] neg_lo:[0,0,1] neg_hi:[0,0,1]
	v_mov_b32_e32 v49, v52
	v_mov_b32_e32 v52, v65
	;; [unrolled: 1-line block ×6, first 2 shown]
	v_pk_mul_f32 v[62:63], v[66:67], v[62:63]
	v_mov_b32_e32 v88, v54
	v_pk_mul_f32 v[42:43], v[42:43], v[52:53]
	v_mul_f32_e32 v64, v44, v55
	v_pk_fma_f32 v[88:89], v[44:45], v[88:89], v[62:63]
	v_pk_fma_f32 v[44:45], v[44:45], v[54:55], v[62:63] neg_lo:[0,0,1] neg_hi:[0,0,1]
	v_pk_fma_f32 v[62:63], v[50:51], v[48:49], v[42:43] neg_lo:[0,0,1] neg_hi:[0,0,1]
	v_pk_fma_f32 v[48:49], v[50:51], v[48:49], v[42:43]
	v_fmac_f32_e32 v64, v54, v66
	v_mov_b32_e32 v59, v83
	v_mov_b32_e32 v45, v89
	;; [unrolled: 1-line block ×4, first 2 shown]
	v_add_f32_e32 v67, v64, v80
	v_add_f32_e32 v54, v87, v79
	v_pk_add_f32 v[52:53], v[44:45], v[58:59] neg_lo:[0,1] neg_hi:[0,1]
	v_pk_add_f32 v[50:51], v[62:63], v[46:47]
	v_pk_add_f32 v[58:59], v[44:45], v[58:59]
	v_mov_b32_e32 v65, v62
	v_lshl_add_u64 v[62:63], v[68:69], 3, v[40:41]
	v_lshl_add_u64 v[68:69], v[70:71], 3, v[40:41]
	;; [unrolled: 1-line block ×5, first 2 shown]
	v_mov_b32_e32 v77, v46
	v_mov_b32_e32 v61, v86
	v_add_f32_e32 v43, v51, v67
	v_add_f32_e32 v44, v54, v58
	v_mov_b32_e32 v45, v59
	v_mov_b32_e32 v42, v50
	;; [unrolled: 1-line block ×7, first 2 shown]
	v_pk_add_f32 v[90:91], v[44:45], v[42:43]
	v_pk_add_f32 v[64:65], v[64:65], v[80:81] neg_lo:[0,1] neg_hi:[0,1]
	v_pk_add_f32 v[48:49], v[12:13], v[76:77] neg_lo:[0,1] neg_hi:[0,1]
	v_pk_add_f32 v[78:79], v[86:87], v[78:79] neg_lo:[0,1] neg_hi:[0,1]
	v_mov_b32_e32 v55, v59
	v_mov_b32_e32 v66, v50
	;; [unrolled: 1-line block ×3, first 2 shown]
	v_pk_add_f32 v[38:39], v[38:39], v[90:91]
	v_mov_b32_e32 v82, v48
	v_mov_b32_e32 v83, v65
	;; [unrolled: 1-line block ×4, first 2 shown]
	v_pk_add_f32 v[46:47], v[54:55], v[66:67] neg_lo:[0,1] neg_hi:[0,1]
	v_pk_add_f32 v[76:77], v[64:65], v[16:17]
	v_pk_fma_f32 v[84:85], v[90:91], s[8:9], v[38:39] op_sel_hi:[1,0,1] neg_lo:[1,0,0] neg_hi:[1,0,0]
	v_pk_add_f32 v[82:83], v[82:83], v[86:87] neg_lo:[0,1] neg_hi:[0,1]
	global_store_dwordx2 v[62:63], v[38:39], off
	v_pk_add_f32 v[38:39], v[78:79], v[64:65]
	v_pk_mul_f32 v[46:47], v[46:47], s[14:15]
	v_pk_add_f32 v[80:81], v[50:51], v[58:59] neg_lo:[0,1] neg_hi:[0,1]
	v_mov_b32_e32 v49, v77
	v_pk_mul_f32 v[82:83], v[82:83], s[12:13]
	v_pk_add_f32 v[86:87], v[78:79], v[64:65] neg_lo:[0,1] neg_hi:[0,1]
	s_mov_b32 s2, s13
	s_mov_b32 s3, s12
	v_mov_b32_e32 v39, v79
	v_pk_fma_f32 v[76:77], v[80:81], s[6:7], v[46:47]
	v_pk_fma_f32 v[88:89], v[86:87], s[2:3], v[82:83]
	v_pk_add_f32 v[38:39], v[38:39], v[48:49]
	v_pk_add_f32 v[76:77], v[76:77], v[84:85]
	v_pk_fma_f32 v[62:63], v[38:39], s[10:11], v[88:89] op_sel_hi:[1,0,1]
	v_mov_b32_e32 v59, v67
	v_pk_add_f32 v[88:89], v[76:77], v[62:63] neg_lo:[0,1] neg_hi:[0,1]
	v_pk_add_f32 v[62:63], v[76:77], v[62:63]
	v_mov_b32_e32 v77, v89
	v_mov_b32_e32 v76, v62
	global_store_dwordx2 v[68:69], v[76:77], off
	v_mad_u64_u32 v[68:69], s[18:19], s16, v19, 0
	v_mov_b32_e32 v12, v69
	v_mad_u64_u32 v[76:77], s[18:19], s17, v19, v[12:13]
	v_mov_b32_e32 v69, v76
	v_pk_mul_f32 v[76:77], v[80:81], s[6:7]
	v_pk_mul_f32 v[80:81], v[86:87], s[2:3]
	v_mov_b32_e32 v55, v51
	v_mov_b32_e32 v65, v52
	;; [unrolled: 1-line block ×3, first 2 shown]
	v_add_u32_e32 v12, 0x4d, v56
	v_mov_b32_e32 v86, v46
	v_mov_b32_e32 v87, v77
	v_pk_add_f32 v[50:51], v[58:59], v[54:55] neg_lo:[0,1] neg_hi:[0,1]
	v_pk_add_f32 v[48:49], v[64:65], v[48:49] neg_lo:[0,1] neg_hi:[0,1]
	v_mov_b32_e32 v52, v82
	v_mov_b32_e32 v53, v81
	;; [unrolled: 1-line block ×4, first 2 shown]
	v_mul_hi_u32 v17, v12, s1
	v_pk_fma_f32 v[54:55], v[50:51], s[4:5], v[86:87] op_sel_hi:[1,0,1] neg_lo:[1,0,1] neg_hi:[1,0,1]
	v_pk_fma_f32 v[52:53], v[48:49], s[0:1], v[52:53] op_sel_hi:[1,0,1] neg_lo:[1,0,1] neg_hi:[1,0,1]
	;; [unrolled: 1-line block ×4, first 2 shown]
	v_lshrrev_b32_e32 v17, 5, v17
	v_pk_add_f32 v[54:55], v[54:55], v[84:85]
	v_pk_fma_f32 v[52:53], v[38:39], s[10:11], v[52:53] op_sel_hi:[1,0,1]
	v_pk_fma_f32 v[38:39], v[38:39], s[10:11], v[48:49] op_sel_hi:[1,0,1]
	v_pk_add_f32 v[46:47], v[46:47], v[84:85]
	v_mul_lo_u32 v19, v17, s5
	v_pk_add_f32 v[58:59], v[54:55], v[52:53] neg_lo:[0,1] neg_hi:[0,1]
	v_pk_add_f32 v[52:53], v[54:55], v[52:53]
	v_pk_add_f32 v[48:49], v[46:47], v[38:39]
	v_pk_add_f32 v[38:39], v[46:47], v[38:39] neg_lo:[0,1] neg_hi:[0,1]
	v_sub_u32_e32 v12, v12, v19
	s_movk_i32 s1, 0x436
	v_mov_b32_e32 v54, v52
	v_mov_b32_e32 v55, v59
	;; [unrolled: 1-line block ×5, first 2 shown]
	v_mad_u64_u32 v[38:39], s[18:19], v17, s1, v[12:13]
	global_store_dwordx2 v[70:71], v[54:55], off
	global_store_dwordx2 v[72:73], v[46:47], off
	v_mad_u64_u32 v[46:47], s[18:19], s16, v38, 0
	v_mov_b32_e32 v12, v47
	global_store_dwordx2 v[74:75], v[48:49], off
	v_mad_u64_u32 v[48:49], s[18:19], s17, v38, v[12:13]
	v_add_u32_e32 v17, 0x9a, v38
	v_mov_b32_e32 v47, v48
	v_mad_u64_u32 v[48:49], s[18:19], s16, v17, 0
	v_mov_b32_e32 v12, v49
	v_mad_u64_u32 v[50:51], s[18:19], s17, v17, v[12:13]
	v_add_u32_e32 v17, 0x134, v38
	v_mov_b32_e32 v49, v50
	v_mad_u64_u32 v[50:51], s[18:19], s16, v17, 0
	v_mov_b32_e32 v12, v51
	v_mov_b32_e32 v59, v53
	v_mad_u64_u32 v[52:53], s[18:19], s17, v17, v[12:13]
	v_add_u32_e32 v17, 0x1ce, v38
	v_mov_b32_e32 v51, v52
	v_mad_u64_u32 v[52:53], s[18:19], s16, v17, 0
	v_mov_b32_e32 v12, v53
	v_mad_u64_u32 v[54:55], s[18:19], s17, v17, v[12:13]
	v_add_u32_e32 v17, 0x268, v38
	v_mov_b32_e32 v53, v54
	v_mad_u64_u32 v[54:55], s[18:19], s16, v17, 0
	;; [unrolled: 5-line block ×3, first 2 shown]
	v_lshl_add_u64 v[60:61], v[60:61], 3, v[40:41]
	v_mov_b32_e32 v12, v57
	global_store_dwordx2 v[60:61], v[58:59], off
	v_mad_u64_u32 v[58:59], s[18:19], s17, v17, v[12:13]
	v_add_u32_e32 v17, 0x39c, v38
	v_mad_u64_u32 v[38:39], s[18:19], s16, v17, 0
	v_mov_b32_e32 v12, v39
	v_mov_b32_e32 v57, v58
	v_mad_u64_u32 v[58:59], s[16:17], s17, v17, v[12:13]
	v_mov_b32_e32 v39, v58
	v_mul_f32_e32 v32, v22, v5
	v_lshl_add_u64 v[68:69], v[68:69], 3, v[40:41]
	v_lshl_add_u64 v[46:47], v[46:47], 3, v[40:41]
	;; [unrolled: 1-line block ×8, first 2 shown]
	v_mov_b32_e32 v40, v5
	s_waitcnt vmcnt(6)
	v_mov_b32_e32 v41, v8
	v_mov_b32_e32 v37, v28
	v_fmac_f32_e32 v32, v4, v36
	v_pk_mul_f32 v[36:37], v[40:41], v[36:37]
	v_mov_b32_e32 v23, v18
	v_mov_b32_e32 v5, v9
	v_pk_fma_f32 v[40:41], v[22:23], v[4:5], v[36:37] neg_lo:[0,0,1] neg_hi:[0,0,1]
	v_pk_fma_f32 v[4:5], v[22:23], v[4:5], v[36:37]
	v_mov_b32_e32 v22, v3
	v_mov_b32_e32 v23, v10
	;; [unrolled: 1-line block ×4, first 2 shown]
	v_mul_f32_e32 v34, v21, v3
	v_pk_mul_f32 v[22:23], v[22:23], v[36:37]
	v_mov_b32_e32 v4, v21
	v_mov_b32_e32 v36, v21
	;; [unrolled: 1-line block ×4, first 2 shown]
	v_fmac_f32_e32 v34, v2, v27
	v_pk_fma_f32 v[58:59], v[4:5], v[2:3], v[22:23] neg_lo:[0,0,1] neg_hi:[0,0,1]
	v_pk_fma_f32 v[2:3], v[36:37], v[2:3], v[22:23]
	v_mov_b32_e32 v36, v9
	v_mov_b32_e32 v37, v6
	v_mul_f32_e32 v31, v92, v7
	v_pk_mul_f32 v[28:29], v[36:37], v[28:29]
	v_mov_b32_e32 v19, v30
	v_mov_b32_e32 v9, v7
	v_fma_f32 v31, v30, v6, -v31
	v_pk_fma_f32 v[6:7], v[18:19], v[8:9], v[28:29] neg_lo:[0,0,1] neg_hi:[0,0,1]
	v_pk_fma_f32 v[8:9], v[18:19], v[8:9], v[28:29]
	v_mov_b32_e32 v18, v11
	v_mov_b32_e32 v19, v0
	;; [unrolled: 1-line block ×3, first 2 shown]
	v_pk_mul_f32 v[18:19], v[18:19], v[24:25]
	v_mov_b32_e32 v17, v20
	v_mov_b32_e32 v11, v1
	;; [unrolled: 1-line block ×4, first 2 shown]
	v_pk_fma_f32 v[0:1], v[16:17], v[10:11], v[18:19] neg_lo:[0,0,1] neg_hi:[0,0,1]
	v_pk_fma_f32 v[10:11], v[16:17], v[10:11], v[18:19]
	v_pk_add_f32 v[22:23], v[58:59], v[40:41] neg_lo:[0,1] neg_hi:[0,1]
	v_mov_b32_e32 v7, v9
	v_mov_b32_e32 v1, v11
	;; [unrolled: 1-line block ×4, first 2 shown]
	v_pk_add_f32 v[16:17], v[0:1], v[6:7]
	v_mov_b32_e32 v0, v9
	v_mov_b32_e32 v1, v6
	v_pk_add_f32 v[6:7], v[34:35], v[32:33] neg_lo:[0,1] neg_hi:[0,1]
	v_mov_b32_e32 v2, v11
	v_mov_b32_e32 v9, v22
	;; [unrolled: 1-line block ×4, first 2 shown]
	v_add_f32_e32 v43, v34, v32
	v_add_f32_e32 v44, v13, v31
	v_pk_add_f32 v[20:21], v[58:59], v[40:41]
	v_pk_add_f32 v[0:1], v[2:3], v[0:1] neg_lo:[0,1] neg_hi:[0,1]
	v_pk_add_f32 v[8:9], v[6:7], v[8:9]
	v_pk_add_f32 v[2:3], v[12:13], v[30:31] neg_lo:[0,1] neg_hi:[0,1]
	v_add_f32_e32 v19, v17, v43
	v_mov_b32_e32 v45, v21
	v_mov_b32_e32 v42, v16
	v_add_f32_e32 v36, v44, v20
	v_mov_b32_e32 v37, v21
	v_mov_b32_e32 v18, v16
	;; [unrolled: 1-line block ×7, first 2 shown]
	v_pk_add_f32 v[24:25], v[44:45], v[42:43] neg_lo:[0,1] neg_hi:[0,1]
	v_pk_add_f32 v[18:19], v[36:37], v[18:19]
	v_pk_add_f32 v[4:5], v[4:5], v[8:9] neg_lo:[0,1] neg_hi:[0,1]
	v_pk_add_f32 v[12:13], v[2:3], v[6:7]
	v_pk_mul_f32 v[24:25], v[24:25], s[14:15]
	v_pk_add_f32 v[26:27], v[16:17], v[20:21] neg_lo:[0,1] neg_hi:[0,1]
	v_pk_add_f32 v[14:15], v[14:15], v[18:19]
	v_pk_mul_f32 v[4:5], v[4:5], s[12:13]
	v_pk_add_f32 v[8:9], v[2:3], v[6:7] neg_lo:[0,1] neg_hi:[0,1]
	v_mov_b32_e32 v13, v3
	v_pk_mul_f32 v[28:29], v[26:27], s[6:7]
	v_pk_fma_f32 v[26:27], v[26:27], s[6:7], v[24:25]
	v_pk_fma_f32 v[18:19], v[18:19], s[8:9], v[14:15] op_sel_hi:[1,0,1] neg_lo:[1,0,0] neg_hi:[1,0,0]
	v_pk_mul_f32 v[10:11], v[8:9], s[2:3]
	v_pk_fma_f32 v[8:9], v[8:9], s[2:3], v[4:5]
	v_pk_add_f32 v[12:13], v[12:13], v[0:1]
	v_pk_add_f32 v[26:27], v[26:27], v[18:19]
	v_pk_fma_f32 v[8:9], v[12:13], s[10:11], v[8:9] op_sel_hi:[1,0,1]
	v_mov_b32_e32 v89, v63
	v_pk_add_f32 v[30:31], v[26:27], v[8:9] neg_lo:[0,1] neg_hi:[0,1]
	v_pk_add_f32 v[8:9], v[26:27], v[8:9]
	global_store_dwordx2 v[68:69], v[88:89], off
	global_store_dwordx2 v[46:47], v[14:15], off
	v_mov_b32_e32 v14, v8
	v_mov_b32_e32 v15, v31
	;; [unrolled: 1-line block ×6, first 2 shown]
	global_store_dwordx2 v[48:49], v[14:15], off
	v_mov_b32_e32 v14, v24
	v_mov_b32_e32 v15, v29
	v_pk_add_f32 v[16:17], v[20:21], v[44:45] neg_lo:[0,1] neg_hi:[0,1]
	v_pk_add_f32 v[0:1], v[6:7], v[0:1] neg_lo:[0,1] neg_hi:[0,1]
	v_mov_b32_e32 v2, v4
	v_mov_b32_e32 v3, v11
	;; [unrolled: 1-line block ×4, first 2 shown]
	v_pk_fma_f32 v[14:15], v[16:17], s[4:5], v[14:15] op_sel_hi:[1,0,1] neg_lo:[1,0,1] neg_hi:[1,0,1]
	v_pk_fma_f32 v[2:3], v[0:1], s[0:1], v[2:3] op_sel_hi:[1,0,1] neg_lo:[1,0,1] neg_hi:[1,0,1]
	;; [unrolled: 1-line block ×4, first 2 shown]
	v_pk_add_f32 v[14:15], v[14:15], v[18:19]
	v_pk_fma_f32 v[2:3], v[12:13], s[10:11], v[2:3] op_sel_hi:[1,0,1]
	v_pk_fma_f32 v[0:1], v[12:13], s[10:11], v[0:1] op_sel_hi:[1,0,1]
	v_pk_add_f32 v[4:5], v[4:5], v[18:19]
	v_pk_add_f32 v[6:7], v[14:15], v[2:3] neg_lo:[0,1] neg_hi:[0,1]
	v_pk_add_f32 v[2:3], v[14:15], v[2:3]
	v_pk_add_f32 v[10:11], v[4:5], v[0:1]
	v_pk_add_f32 v[0:1], v[4:5], v[0:1] neg_lo:[0,1] neg_hi:[0,1]
	v_mov_b32_e32 v14, v2
	v_mov_b32_e32 v15, v7
	;; [unrolled: 1-line block ×7, first 2 shown]
	global_store_dwordx2 v[50:51], v[14:15], off
	global_store_dwordx2 v[52:53], v[4:5], off
	;; [unrolled: 1-line block ×5, first 2 shown]
.LBB0_22:
	s_endpgm
	.section	.rodata,"a",@progbits
	.p2align	6, 0x0
	.amdhsa_kernel fft_rtc_fwd_len1078_factors_2_11_7_7_wgs_231_tpt_77_halfLds_sp_op_CI_CI_sbrr_dirReg
		.amdhsa_group_segment_fixed_size 0
		.amdhsa_private_segment_fixed_size 0
		.amdhsa_kernarg_size 104
		.amdhsa_user_sgpr_count 2
		.amdhsa_user_sgpr_dispatch_ptr 0
		.amdhsa_user_sgpr_queue_ptr 0
		.amdhsa_user_sgpr_kernarg_segment_ptr 1
		.amdhsa_user_sgpr_dispatch_id 0
		.amdhsa_user_sgpr_kernarg_preload_length 0
		.amdhsa_user_sgpr_kernarg_preload_offset 0
		.amdhsa_user_sgpr_private_segment_size 0
		.amdhsa_uses_dynamic_stack 0
		.amdhsa_enable_private_segment 0
		.amdhsa_system_sgpr_workgroup_id_x 1
		.amdhsa_system_sgpr_workgroup_id_y 0
		.amdhsa_system_sgpr_workgroup_id_z 0
		.amdhsa_system_sgpr_workgroup_info 0
		.amdhsa_system_vgpr_workitem_id 0
		.amdhsa_next_free_vgpr 109
		.amdhsa_next_free_sgpr 32
		.amdhsa_accum_offset 112
		.amdhsa_reserve_vcc 1
		.amdhsa_float_round_mode_32 0
		.amdhsa_float_round_mode_16_64 0
		.amdhsa_float_denorm_mode_32 3
		.amdhsa_float_denorm_mode_16_64 3
		.amdhsa_dx10_clamp 1
		.amdhsa_ieee_mode 1
		.amdhsa_fp16_overflow 0
		.amdhsa_tg_split 0
		.amdhsa_exception_fp_ieee_invalid_op 0
		.amdhsa_exception_fp_denorm_src 0
		.amdhsa_exception_fp_ieee_div_zero 0
		.amdhsa_exception_fp_ieee_overflow 0
		.amdhsa_exception_fp_ieee_underflow 0
		.amdhsa_exception_fp_ieee_inexact 0
		.amdhsa_exception_int_div_zero 0
	.end_amdhsa_kernel
	.text
.Lfunc_end0:
	.size	fft_rtc_fwd_len1078_factors_2_11_7_7_wgs_231_tpt_77_halfLds_sp_op_CI_CI_sbrr_dirReg, .Lfunc_end0-fft_rtc_fwd_len1078_factors_2_11_7_7_wgs_231_tpt_77_halfLds_sp_op_CI_CI_sbrr_dirReg
                                        ; -- End function
	.section	.AMDGPU.csdata,"",@progbits
; Kernel info:
; codeLenInByte = 11680
; NumSgprs: 38
; NumVgprs: 109
; NumAgprs: 0
; TotalNumVgprs: 109
; ScratchSize: 0
; MemoryBound: 0
; FloatMode: 240
; IeeeMode: 1
; LDSByteSize: 0 bytes/workgroup (compile time only)
; SGPRBlocks: 4
; VGPRBlocks: 13
; NumSGPRsForWavesPerEU: 38
; NumVGPRsForWavesPerEU: 109
; AccumOffset: 112
; Occupancy: 4
; WaveLimiterHint : 1
; COMPUTE_PGM_RSRC2:SCRATCH_EN: 0
; COMPUTE_PGM_RSRC2:USER_SGPR: 2
; COMPUTE_PGM_RSRC2:TRAP_HANDLER: 0
; COMPUTE_PGM_RSRC2:TGID_X_EN: 1
; COMPUTE_PGM_RSRC2:TGID_Y_EN: 0
; COMPUTE_PGM_RSRC2:TGID_Z_EN: 0
; COMPUTE_PGM_RSRC2:TIDIG_COMP_CNT: 0
; COMPUTE_PGM_RSRC3_GFX90A:ACCUM_OFFSET: 27
; COMPUTE_PGM_RSRC3_GFX90A:TG_SPLIT: 0
	.text
	.p2alignl 6, 3212836864
	.fill 256, 4, 3212836864
	.type	__hip_cuid_c373a9f463b486f,@object ; @__hip_cuid_c373a9f463b486f
	.section	.bss,"aw",@nobits
	.globl	__hip_cuid_c373a9f463b486f
__hip_cuid_c373a9f463b486f:
	.byte	0                               ; 0x0
	.size	__hip_cuid_c373a9f463b486f, 1

	.ident	"AMD clang version 19.0.0git (https://github.com/RadeonOpenCompute/llvm-project roc-6.4.0 25133 c7fe45cf4b819c5991fe208aaa96edf142730f1d)"
	.section	".note.GNU-stack","",@progbits
	.addrsig
	.addrsig_sym __hip_cuid_c373a9f463b486f
	.amdgpu_metadata
---
amdhsa.kernels:
  - .agpr_count:     0
    .args:
      - .actual_access:  read_only
        .address_space:  global
        .offset:         0
        .size:           8
        .value_kind:     global_buffer
      - .offset:         8
        .size:           8
        .value_kind:     by_value
      - .actual_access:  read_only
        .address_space:  global
        .offset:         16
        .size:           8
        .value_kind:     global_buffer
      - .actual_access:  read_only
        .address_space:  global
        .offset:         24
        .size:           8
        .value_kind:     global_buffer
      - .actual_access:  read_only
        .address_space:  global
        .offset:         32
        .size:           8
        .value_kind:     global_buffer
      - .offset:         40
        .size:           8
        .value_kind:     by_value
      - .actual_access:  read_only
        .address_space:  global
        .offset:         48
        .size:           8
        .value_kind:     global_buffer
      - .actual_access:  read_only
        .address_space:  global
        .offset:         56
        .size:           8
        .value_kind:     global_buffer
      - .offset:         64
        .size:           4
        .value_kind:     by_value
      - .actual_access:  read_only
        .address_space:  global
        .offset:         72
        .size:           8
        .value_kind:     global_buffer
      - .actual_access:  read_only
        .address_space:  global
        .offset:         80
        .size:           8
        .value_kind:     global_buffer
      - .actual_access:  read_only
        .address_space:  global
        .offset:         88
        .size:           8
        .value_kind:     global_buffer
      - .actual_access:  write_only
        .address_space:  global
        .offset:         96
        .size:           8
        .value_kind:     global_buffer
    .group_segment_fixed_size: 0
    .kernarg_segment_align: 8
    .kernarg_segment_size: 104
    .language:       OpenCL C
    .language_version:
      - 2
      - 0
    .max_flat_workgroup_size: 231
    .name:           fft_rtc_fwd_len1078_factors_2_11_7_7_wgs_231_tpt_77_halfLds_sp_op_CI_CI_sbrr_dirReg
    .private_segment_fixed_size: 0
    .sgpr_count:     38
    .sgpr_spill_count: 0
    .symbol:         fft_rtc_fwd_len1078_factors_2_11_7_7_wgs_231_tpt_77_halfLds_sp_op_CI_CI_sbrr_dirReg.kd
    .uniform_work_group_size: 1
    .uses_dynamic_stack: false
    .vgpr_count:     109
    .vgpr_spill_count: 0
    .wavefront_size: 64
amdhsa.target:   amdgcn-amd-amdhsa--gfx950
amdhsa.version:
  - 1
  - 2
...

	.end_amdgpu_metadata
